;; amdgpu-corpus repo=ROCm/rocFFT kind=compiled arch=gfx906 opt=O3
	.text
	.amdgcn_target "amdgcn-amd-amdhsa--gfx906"
	.amdhsa_code_object_version 6
	.protected	fft_rtc_back_len1638_factors_13_2_3_7_3_wgs_182_tpt_182_halfLds_half_ip_CI_unitstride_sbrr_C2R_dirReg ; -- Begin function fft_rtc_back_len1638_factors_13_2_3_7_3_wgs_182_tpt_182_halfLds_half_ip_CI_unitstride_sbrr_C2R_dirReg
	.globl	fft_rtc_back_len1638_factors_13_2_3_7_3_wgs_182_tpt_182_halfLds_half_ip_CI_unitstride_sbrr_C2R_dirReg
	.p2align	8
	.type	fft_rtc_back_len1638_factors_13_2_3_7_3_wgs_182_tpt_182_halfLds_half_ip_CI_unitstride_sbrr_C2R_dirReg,@function
fft_rtc_back_len1638_factors_13_2_3_7_3_wgs_182_tpt_182_halfLds_half_ip_CI_unitstride_sbrr_C2R_dirReg: ; @fft_rtc_back_len1638_factors_13_2_3_7_3_wgs_182_tpt_182_halfLds_half_ip_CI_unitstride_sbrr_C2R_dirReg
; %bb.0:
	s_load_dwordx2 s[12:13], s[4:5], 0x50
	s_load_dwordx4 s[8:11], s[4:5], 0x0
	s_load_dwordx2 s[2:3], s[4:5], 0x18
	v_mul_u32_u24_e32 v1, 0x169, v0
	v_add_u32_sdwa v5, s6, v1 dst_sel:DWORD dst_unused:UNUSED_PAD src0_sel:DWORD src1_sel:WORD_1
	v_mov_b32_e32 v3, 0
	s_waitcnt lgkmcnt(0)
	v_cmp_lt_u64_e64 s[0:1], s[10:11], 2
	v_mov_b32_e32 v1, 0
	v_mov_b32_e32 v6, v3
	s_and_b64 vcc, exec, s[0:1]
	v_mov_b32_e32 v2, 0
	s_cbranch_vccnz .LBB0_8
; %bb.1:
	s_load_dwordx2 s[0:1], s[4:5], 0x10
	s_add_u32 s6, s2, 8
	s_addc_u32 s7, s3, 0
	v_mov_b32_e32 v1, 0
	v_mov_b32_e32 v2, 0
	s_waitcnt lgkmcnt(0)
	s_add_u32 s14, s0, 8
	s_addc_u32 s15, s1, 0
	s_mov_b64 s[16:17], 1
.LBB0_2:                                ; =>This Inner Loop Header: Depth=1
	s_load_dwordx2 s[18:19], s[14:15], 0x0
                                        ; implicit-def: $vgpr7_vgpr8
	s_waitcnt lgkmcnt(0)
	v_or_b32_e32 v4, s19, v6
	v_cmp_ne_u64_e32 vcc, 0, v[3:4]
	s_and_saveexec_b64 s[0:1], vcc
	s_xor_b64 s[20:21], exec, s[0:1]
	s_cbranch_execz .LBB0_4
; %bb.3:                                ;   in Loop: Header=BB0_2 Depth=1
	v_cvt_f32_u32_e32 v4, s18
	v_cvt_f32_u32_e32 v7, s19
	s_sub_u32 s0, 0, s18
	s_subb_u32 s1, 0, s19
	v_mac_f32_e32 v4, 0x4f800000, v7
	v_rcp_f32_e32 v4, v4
	v_mul_f32_e32 v4, 0x5f7ffffc, v4
	v_mul_f32_e32 v7, 0x2f800000, v4
	v_trunc_f32_e32 v7, v7
	v_mac_f32_e32 v4, 0xcf800000, v7
	v_cvt_u32_f32_e32 v7, v7
	v_cvt_u32_f32_e32 v4, v4
	v_mul_lo_u32 v8, s0, v7
	v_mul_hi_u32 v9, s0, v4
	v_mul_lo_u32 v11, s1, v4
	v_mul_lo_u32 v10, s0, v4
	v_add_u32_e32 v8, v9, v8
	v_add_u32_e32 v8, v8, v11
	v_mul_hi_u32 v9, v4, v10
	v_mul_lo_u32 v11, v4, v8
	v_mul_hi_u32 v13, v4, v8
	v_mul_hi_u32 v12, v7, v10
	v_mul_lo_u32 v10, v7, v10
	v_mul_hi_u32 v14, v7, v8
	v_add_co_u32_e32 v9, vcc, v9, v11
	v_addc_co_u32_e32 v11, vcc, 0, v13, vcc
	v_mul_lo_u32 v8, v7, v8
	v_add_co_u32_e32 v9, vcc, v9, v10
	v_addc_co_u32_e32 v9, vcc, v11, v12, vcc
	v_addc_co_u32_e32 v10, vcc, 0, v14, vcc
	v_add_co_u32_e32 v8, vcc, v9, v8
	v_addc_co_u32_e32 v9, vcc, 0, v10, vcc
	v_add_co_u32_e32 v4, vcc, v4, v8
	v_addc_co_u32_e32 v7, vcc, v7, v9, vcc
	v_mul_lo_u32 v8, s0, v7
	v_mul_hi_u32 v9, s0, v4
	v_mul_lo_u32 v10, s1, v4
	v_mul_lo_u32 v11, s0, v4
	v_add_u32_e32 v8, v9, v8
	v_add_u32_e32 v8, v8, v10
	v_mul_lo_u32 v12, v4, v8
	v_mul_hi_u32 v13, v4, v11
	v_mul_hi_u32 v14, v4, v8
	;; [unrolled: 1-line block ×3, first 2 shown]
	v_mul_lo_u32 v11, v7, v11
	v_mul_hi_u32 v9, v7, v8
	v_add_co_u32_e32 v12, vcc, v13, v12
	v_addc_co_u32_e32 v13, vcc, 0, v14, vcc
	v_mul_lo_u32 v8, v7, v8
	v_add_co_u32_e32 v11, vcc, v12, v11
	v_addc_co_u32_e32 v10, vcc, v13, v10, vcc
	v_addc_co_u32_e32 v9, vcc, 0, v9, vcc
	v_add_co_u32_e32 v8, vcc, v10, v8
	v_addc_co_u32_e32 v9, vcc, 0, v9, vcc
	v_add_co_u32_e32 v4, vcc, v4, v8
	v_addc_co_u32_e32 v9, vcc, v7, v9, vcc
	v_mad_u64_u32 v[7:8], s[0:1], v5, v9, 0
	v_mul_hi_u32 v10, v5, v4
	v_add_co_u32_e32 v11, vcc, v10, v7
	v_addc_co_u32_e32 v12, vcc, 0, v8, vcc
	v_mad_u64_u32 v[7:8], s[0:1], v6, v4, 0
	v_mad_u64_u32 v[9:10], s[0:1], v6, v9, 0
	v_add_co_u32_e32 v4, vcc, v11, v7
	v_addc_co_u32_e32 v4, vcc, v12, v8, vcc
	v_addc_co_u32_e32 v7, vcc, 0, v10, vcc
	v_add_co_u32_e32 v4, vcc, v4, v9
	v_addc_co_u32_e32 v9, vcc, 0, v7, vcc
	v_mul_lo_u32 v10, s19, v4
	v_mul_lo_u32 v11, s18, v9
	v_mad_u64_u32 v[7:8], s[0:1], s18, v4, 0
	v_add3_u32 v8, v8, v11, v10
	v_sub_u32_e32 v10, v6, v8
	v_mov_b32_e32 v11, s19
	v_sub_co_u32_e32 v7, vcc, v5, v7
	v_subb_co_u32_e64 v10, s[0:1], v10, v11, vcc
	v_subrev_co_u32_e64 v11, s[0:1], s18, v7
	v_subbrev_co_u32_e64 v10, s[0:1], 0, v10, s[0:1]
	v_cmp_le_u32_e64 s[0:1], s19, v10
	v_cndmask_b32_e64 v12, 0, -1, s[0:1]
	v_cmp_le_u32_e64 s[0:1], s18, v11
	v_cndmask_b32_e64 v11, 0, -1, s[0:1]
	v_cmp_eq_u32_e64 s[0:1], s19, v10
	v_cndmask_b32_e64 v10, v12, v11, s[0:1]
	v_add_co_u32_e64 v11, s[0:1], 2, v4
	v_addc_co_u32_e64 v12, s[0:1], 0, v9, s[0:1]
	v_add_co_u32_e64 v13, s[0:1], 1, v4
	v_addc_co_u32_e64 v14, s[0:1], 0, v9, s[0:1]
	v_subb_co_u32_e32 v8, vcc, v6, v8, vcc
	v_cmp_ne_u32_e64 s[0:1], 0, v10
	v_cmp_le_u32_e32 vcc, s19, v8
	v_cndmask_b32_e64 v10, v14, v12, s[0:1]
	v_cndmask_b32_e64 v12, 0, -1, vcc
	v_cmp_le_u32_e32 vcc, s18, v7
	v_cndmask_b32_e64 v7, 0, -1, vcc
	v_cmp_eq_u32_e32 vcc, s19, v8
	v_cndmask_b32_e32 v7, v12, v7, vcc
	v_cmp_ne_u32_e32 vcc, 0, v7
	v_cndmask_b32_e64 v7, v13, v11, s[0:1]
	v_cndmask_b32_e32 v8, v9, v10, vcc
	v_cndmask_b32_e32 v7, v4, v7, vcc
.LBB0_4:                                ;   in Loop: Header=BB0_2 Depth=1
	s_andn2_saveexec_b64 s[0:1], s[20:21]
	s_cbranch_execz .LBB0_6
; %bb.5:                                ;   in Loop: Header=BB0_2 Depth=1
	v_cvt_f32_u32_e32 v4, s18
	s_sub_i32 s20, 0, s18
	v_rcp_iflag_f32_e32 v4, v4
	v_mul_f32_e32 v4, 0x4f7ffffe, v4
	v_cvt_u32_f32_e32 v4, v4
	v_mul_lo_u32 v7, s20, v4
	v_mul_hi_u32 v7, v4, v7
	v_add_u32_e32 v4, v4, v7
	v_mul_hi_u32 v4, v5, v4
	v_mul_lo_u32 v7, v4, s18
	v_add_u32_e32 v8, 1, v4
	v_sub_u32_e32 v7, v5, v7
	v_subrev_u32_e32 v9, s18, v7
	v_cmp_le_u32_e32 vcc, s18, v7
	v_cndmask_b32_e32 v7, v7, v9, vcc
	v_cndmask_b32_e32 v4, v4, v8, vcc
	v_add_u32_e32 v8, 1, v4
	v_cmp_le_u32_e32 vcc, s18, v7
	v_cndmask_b32_e32 v7, v4, v8, vcc
	v_mov_b32_e32 v8, v3
.LBB0_6:                                ;   in Loop: Header=BB0_2 Depth=1
	s_or_b64 exec, exec, s[0:1]
	v_mul_lo_u32 v4, v8, s18
	v_mul_lo_u32 v11, v7, s19
	v_mad_u64_u32 v[9:10], s[0:1], v7, s18, 0
	s_load_dwordx2 s[0:1], s[6:7], 0x0
	s_add_u32 s16, s16, 1
	v_add3_u32 v4, v10, v11, v4
	v_sub_co_u32_e32 v5, vcc, v5, v9
	v_subb_co_u32_e32 v4, vcc, v6, v4, vcc
	s_waitcnt lgkmcnt(0)
	v_mul_lo_u32 v4, s0, v4
	v_mul_lo_u32 v6, s1, v5
	v_mad_u64_u32 v[1:2], s[0:1], s0, v5, v[1:2]
	s_addc_u32 s17, s17, 0
	s_add_u32 s6, s6, 8
	v_add3_u32 v2, v6, v2, v4
	v_mov_b32_e32 v4, s10
	v_mov_b32_e32 v5, s11
	s_addc_u32 s7, s7, 0
	v_cmp_ge_u64_e32 vcc, s[16:17], v[4:5]
	s_add_u32 s14, s14, 8
	s_addc_u32 s15, s15, 0
	s_cbranch_vccnz .LBB0_9
; %bb.7:                                ;   in Loop: Header=BB0_2 Depth=1
	v_mov_b32_e32 v5, v7
	v_mov_b32_e32 v6, v8
	s_branch .LBB0_2
.LBB0_8:
	v_mov_b32_e32 v8, v6
	v_mov_b32_e32 v7, v5
.LBB0_9:
	s_lshl_b64 s[0:1], s[10:11], 3
	s_add_u32 s0, s2, s0
	s_addc_u32 s1, s3, s1
	s_load_dwordx2 s[2:3], s[0:1], 0x0
	s_load_dwordx2 s[6:7], s[4:5], 0x20
	s_waitcnt lgkmcnt(0)
	v_mad_u64_u32 v[1:2], s[0:1], s2, v7, v[1:2]
	v_mul_lo_u32 v3, s2, v8
	v_mul_lo_u32 v4, s3, v7
	s_mov_b32 s0, 0x1681682
	v_mul_hi_u32 v5, v0, s0
	v_cmp_gt_u64_e64 s[0:1], s[6:7], v[7:8]
	v_add3_u32 v2, v4, v2, v3
	v_lshlrev_b64 v[2:3], 2, v[1:2]
	v_mul_u32_u24_e32 v4, 0xb6, v5
	v_sub_u32_e32 v0, v0, v4
	s_and_saveexec_b64 s[2:3], s[0:1]
	s_cbranch_execz .LBB0_13
; %bb.10:
	v_mov_b32_e32 v1, 0
	v_mov_b32_e32 v4, s13
	v_add_co_u32_e32 v5, vcc, s12, v2
	v_lshlrev_b64 v[6:7], 2, v[0:1]
	v_addc_co_u32_e32 v4, vcc, v4, v3, vcc
	v_add_co_u32_e32 v6, vcc, v5, v6
	v_addc_co_u32_e32 v7, vcc, v4, v7, vcc
	v_add_co_u32_e32 v8, vcc, 0x1000, v6
	v_addc_co_u32_e32 v9, vcc, 0, v7, vcc
	global_load_dword v10, v[6:7], off
	global_load_dword v11, v[6:7], off offset:728
	global_load_dword v12, v[6:7], off offset:1456
	;; [unrolled: 1-line block ×8, first 2 shown]
	s_movk_i32 s4, 0xb5
	v_lshl_add_u32 v6, v0, 2, 0
	v_cmp_eq_u32_e32 vcc, s4, v0
	v_add_u32_e32 v7, 0x500, v6
	v_add_u32_e32 v8, 0xb00, v6
	;; [unrolled: 1-line block ×3, first 2 shown]
	s_waitcnt vmcnt(7)
	ds_write2_b32 v6, v10, v11 offset1:182
	s_waitcnt vmcnt(5)
	ds_write2_b32 v7, v12, v13 offset0:44 offset1:226
	s_waitcnt vmcnt(3)
	ds_write2_b32 v8, v14, v15 offset0:24 offset1:206
	s_waitcnt vmcnt(1)
	ds_write2_b32 v9, v16, v17 offset0:68 offset1:250
	s_waitcnt vmcnt(0)
	ds_write_b32 v6, v18 offset:5824
	s_and_saveexec_b64 s[4:5], vcc
	s_cbranch_execz .LBB0_12
; %bb.11:
	v_add_co_u32_e32 v5, vcc, 0x1000, v5
	v_addc_co_u32_e32 v6, vcc, 0, v4, vcc
	global_load_dword v0, v[5:6], off offset:2456
	s_waitcnt vmcnt(0)
	ds_write_b32 v1, v0 offset:6552
	v_mov_b32_e32 v0, 0xb5
.LBB0_12:
	s_or_b64 exec, exec, s[4:5]
.LBB0_13:
	s_or_b64 exec, exec, s[2:3]
	v_lshlrev_b32_e32 v1, 2, v0
	v_add_u32_e32 v20, 0, v1
	s_waitcnt lgkmcnt(0)
	s_barrier
	v_sub_u32_e32 v6, 0, v1
	ds_read_u16 v9, v20
	ds_read_u16 v10, v6 offset:6552
	s_add_u32 s4, s8, 0x1964
	s_addc_u32 s5, s9, 0
	v_cmp_ne_u32_e32 vcc, 0, v0
                                        ; implicit-def: $vgpr4_vgpr5
	s_waitcnt lgkmcnt(0)
	v_add_f16_e32 v7, v10, v9
	v_sub_f16_e32 v8, v9, v10
	s_and_saveexec_b64 s[2:3], vcc
	s_xor_b64 s[2:3], exec, s[2:3]
	s_cbranch_execz .LBB0_15
; %bb.14:
	v_mov_b32_e32 v1, 0
	v_lshlrev_b64 v[4:5], 2, v[0:1]
	v_mov_b32_e32 v7, s5
	v_add_co_u32_e32 v4, vcc, s4, v4
	v_addc_co_u32_e32 v5, vcc, v7, v5, vcc
	global_load_dword v4, v[4:5], off
	ds_read_u16 v5, v6 offset:6554
	ds_read_u16 v7, v20 offset:2
	v_add_f16_e32 v8, v10, v9
	v_sub_f16_e32 v9, v9, v10
	s_waitcnt lgkmcnt(0)
	v_add_f16_e32 v10, v5, v7
	v_sub_f16_e32 v5, v7, v5
	s_waitcnt vmcnt(0)
	v_lshrrev_b32_e32 v7, 16, v4
	v_fma_f16 v11, v9, v7, v8
	v_fma_f16 v12, v10, v7, v5
	v_fma_f16 v13, -v9, v7, v8
	v_fma_f16 v5, v10, v7, -v5
	v_fma_f16 v7, -v4, v10, v11
	v_fma_f16 v8, v9, v4, v12
	v_fma_f16 v10, v4, v10, v13
	;; [unrolled: 1-line block ×3, first 2 shown]
	v_pack_b32_f16 v4, v10, v4
	ds_write_b32 v6, v4 offset:6552
	v_mov_b32_e32 v5, v1
	v_mov_b32_e32 v4, v0
.LBB0_15:
	s_andn2_saveexec_b64 s[2:3], s[2:3]
	s_cbranch_execz .LBB0_17
; %bb.16:
	v_mov_b32_e32 v1, 0
	ds_read_b32 v4, v1 offset:3276
	s_mov_b32 s6, 0xc0004000
	s_waitcnt lgkmcnt(0)
	v_pk_mul_f16 v9, v4, s6
	v_mov_b32_e32 v4, 0
	v_mov_b32_e32 v5, 0
	ds_write_b32 v1, v9 offset:3276
.LBB0_17:
	s_or_b64 exec, exec, s[2:3]
	v_lshlrev_b64 v[4:5], 2, v[4:5]
	v_mov_b32_e32 v1, s5
	v_add_co_u32_e32 v4, vcc, s4, v4
	v_addc_co_u32_e32 v5, vcc, v1, v5, vcc
	global_load_dword v1, v[4:5], off offset:728
	global_load_dword v9, v[4:5], off offset:1456
	;; [unrolled: 1-line block ×3, first 2 shown]
	s_mov_b32 s2, 0x5040100
	v_perm_b32 v7, v8, v7, s2
	ds_write_b32 v20, v7
	ds_read_b32 v7, v20 offset:728
	ds_read_b32 v8, v6 offset:5824
	s_movk_i32 s2, 0x5b
	v_cmp_gt_u32_e32 vcc, s2, v0
	s_waitcnt lgkmcnt(0)
	v_add_f16_e32 v11, v7, v8
	v_add_f16_sdwa v12, v8, v7 dst_sel:DWORD dst_unused:UNUSED_PAD src0_sel:WORD_1 src1_sel:WORD_1
	v_sub_f16_e32 v13, v7, v8
	v_sub_f16_sdwa v7, v7, v8 dst_sel:DWORD dst_unused:UNUSED_PAD src0_sel:WORD_1 src1_sel:WORD_1
	s_waitcnt vmcnt(2)
	v_lshrrev_b32_e32 v8, 16, v1
	v_fma_f16 v14, v13, v8, v11
	v_fma_f16 v15, v12, v8, v7
	v_fma_f16 v11, -v13, v8, v11
	v_fma_f16 v7, v12, v8, -v7
	v_fma_f16 v8, -v1, v12, v14
	v_fma_f16 v14, v13, v1, v15
	v_fma_f16 v11, v1, v12, v11
	;; [unrolled: 1-line block ×3, first 2 shown]
	v_pack_b32_f16 v7, v8, v14
	v_pack_b32_f16 v1, v11, v1
	ds_write_b32 v20, v7 offset:728
	ds_write_b32 v6, v1 offset:5824
	ds_read_b32 v1, v20 offset:1456
	ds_read_b32 v7, v6 offset:5096
	s_waitcnt vmcnt(1)
	v_lshrrev_b32_e32 v8, 16, v9
	s_waitcnt lgkmcnt(0)
	v_add_f16_e32 v11, v1, v7
	v_add_f16_sdwa v12, v7, v1 dst_sel:DWORD dst_unused:UNUSED_PAD src0_sel:WORD_1 src1_sel:WORD_1
	v_sub_f16_e32 v13, v1, v7
	v_sub_f16_sdwa v1, v1, v7 dst_sel:DWORD dst_unused:UNUSED_PAD src0_sel:WORD_1 src1_sel:WORD_1
	v_fma_f16 v7, v13, v8, v11
	v_fma_f16 v14, v12, v8, v1
	v_fma_f16 v11, -v13, v8, v11
	v_fma_f16 v1, v12, v8, -v1
	v_fma_f16 v7, -v9, v12, v7
	v_fma_f16 v8, v13, v9, v14
	v_fma_f16 v11, v9, v12, v11
	;; [unrolled: 1-line block ×3, first 2 shown]
	v_pack_b32_f16 v7, v7, v8
	v_pack_b32_f16 v1, v11, v1
	ds_write_b32 v20, v7 offset:1456
	ds_write_b32 v6, v1 offset:5096
	ds_read_b32 v1, v20 offset:2184
	ds_read_b32 v7, v6 offset:4368
	s_waitcnt vmcnt(0)
	v_lshrrev_b32_e32 v8, 16, v10
	s_waitcnt lgkmcnt(0)
	v_add_f16_e32 v9, v1, v7
	v_add_f16_sdwa v11, v7, v1 dst_sel:DWORD dst_unused:UNUSED_PAD src0_sel:WORD_1 src1_sel:WORD_1
	v_sub_f16_e32 v12, v1, v7
	v_sub_f16_sdwa v1, v1, v7 dst_sel:DWORD dst_unused:UNUSED_PAD src0_sel:WORD_1 src1_sel:WORD_1
	v_fma_f16 v7, v12, v8, v9
	v_fma_f16 v13, v11, v8, v1
	v_fma_f16 v9, -v12, v8, v9
	v_fma_f16 v1, v11, v8, -v1
	v_fma_f16 v7, -v10, v11, v7
	v_fma_f16 v8, v12, v10, v13
	v_fma_f16 v9, v10, v11, v9
	;; [unrolled: 1-line block ×3, first 2 shown]
	v_pack_b32_f16 v7, v7, v8
	v_pack_b32_f16 v1, v9, v1
	ds_write_b32 v20, v7 offset:2184
	ds_write_b32 v6, v1 offset:4368
	s_and_saveexec_b64 s[2:3], vcc
	s_cbranch_execz .LBB0_19
; %bb.18:
	global_load_dword v1, v[4:5], off offset:2912
	ds_read_b32 v4, v20 offset:2912
	ds_read_b32 v5, v6 offset:3640
	s_waitcnt lgkmcnt(0)
	v_add_f16_e32 v7, v4, v5
	v_add_f16_sdwa v8, v5, v4 dst_sel:DWORD dst_unused:UNUSED_PAD src0_sel:WORD_1 src1_sel:WORD_1
	v_sub_f16_e32 v9, v4, v5
	v_sub_f16_sdwa v4, v4, v5 dst_sel:DWORD dst_unused:UNUSED_PAD src0_sel:WORD_1 src1_sel:WORD_1
	s_waitcnt vmcnt(0)
	v_lshrrev_b32_e32 v5, 16, v1
	v_fma_f16 v10, v9, v5, v7
	v_fma_f16 v11, v8, v5, v4
	v_fma_f16 v7, -v9, v5, v7
	v_fma_f16 v4, v8, v5, -v4
	v_fma_f16 v5, -v1, v8, v10
	v_fma_f16 v10, v9, v1, v11
	v_fma_f16 v7, v1, v8, v7
	;; [unrolled: 1-line block ×3, first 2 shown]
	v_pack_b32_f16 v4, v5, v10
	v_pack_b32_f16 v1, v7, v1
	ds_write_b32 v20, v4 offset:2912
	ds_write_b32 v6, v1 offset:3640
.LBB0_19:
	s_or_b64 exec, exec, s[2:3]
	s_waitcnt lgkmcnt(0)
	s_barrier
	s_barrier
	ds_read_b32 v25, v20 offset:6048
	ds_read2_b32 v[8:9], v20 offset1:126
	v_add_u32_e32 v1, 0x200, v20
	v_add_u32_e32 v6, 0x1200, v20
	ds_read2_b32 v[12:13], v1 offset0:124 offset1:250
	ds_read2_b32 v[10:11], v6 offset0:108 offset1:234
	s_waitcnt lgkmcnt(2)
	v_pk_add_f16 v24, v9, v25 neg_lo:[0,1] neg_hi:[0,1]
	s_mov_b32 s2, 0xba95
	v_pk_add_f16 v23, v25, v9
	s_movk_i32 s6, 0x388b
	v_mul_f16_sdwa v28, v24, s2 dst_sel:DWORD dst_unused:UNUSED_PAD src0_sel:WORD_1 src1_sel:DWORD
	s_mov_b32 s10, 0xbb7b
	s_waitcnt lgkmcnt(0)
	v_pk_add_f16 v27, v12, v11 neg_lo:[0,1] neg_hi:[0,1]
	v_fma_f16 v1, v23, s6, -v28
	s_mov_b32 s7, 0xb5ac
	v_pk_add_f16 v26, v11, v12
	v_mul_f16_sdwa v34, v27, s10 dst_sel:DWORD dst_unused:UNUSED_PAD src0_sel:WORD_1 src1_sel:DWORD
	v_mul_f16_sdwa v31, v23, s6 dst_sel:DWORD dst_unused:UNUSED_PAD src0_sel:WORD_1 src1_sel:DWORD
	v_add_f16_e32 v1, v8, v1
	v_fma_f16 v4, v26, s7, -v34
	v_add_f16_e32 v1, v4, v1
	v_fma_f16 v4, v24, s2, v31
	v_mul_f16_sdwa v37, v26, s7 dst_sel:DWORD dst_unused:UNUSED_PAD src0_sel:WORD_1 src1_sel:DWORD
	s_mov_b32 s3, 0xbbf1
	v_add_f16_sdwa v4, v8, v4 dst_sel:DWORD dst_unused:UNUSED_PAD src0_sel:WORD_1 src1_sel:DWORD
	v_fma_f16 v5, v27, s10, v37
	s_movk_i32 s11, 0x2fb7
	v_mul_f16_sdwa v38, v24, s3 dst_sel:DWORD dst_unused:UNUSED_PAD src0_sel:WORD_1 src1_sel:DWORD
	s_mov_b32 s16, 0xb3a8
	v_add_f16_e32 v4, v5, v4
	v_fma_f16 v5, v23, s11, -v38
	s_mov_b32 s14, 0xbbc4
	v_mul_f16_sdwa v40, v27, s16 dst_sel:DWORD dst_unused:UNUSED_PAD src0_sel:WORD_1 src1_sel:DWORD
	v_add_f16_e32 v5, v8, v5
	v_fma_f16 v7, v26, s14, -v40
	v_mul_f16_sdwa v42, v23, s11 dst_sel:DWORD dst_unused:UNUSED_PAD src0_sel:WORD_1 src1_sel:DWORD
	v_add_f16_e32 v5, v7, v5
	v_fma_f16 v7, v24, s3, v42
	v_mul_f16_sdwa v43, v26, s14 dst_sel:DWORD dst_unused:UNUSED_PAD src0_sel:WORD_1 src1_sel:DWORD
	v_add_f16_sdwa v7, v8, v7 dst_sel:DWORD dst_unused:UNUSED_PAD src0_sel:WORD_1 src1_sel:DWORD
	v_fma_f16 v14, v27, s16, v43
	v_mul_f16_sdwa v47, v24, s10 dst_sel:DWORD dst_unused:UNUSED_PAD src0_sel:WORD_1 src1_sel:DWORD
	s_movk_i32 s4, 0x394e
	v_add_f16_e32 v7, v14, v7
	v_fma_f16 v14, v23, s7, -v47
	s_mov_b32 s15, 0xb9fd
	v_mul_f16_sdwa v48, v27, s4 dst_sel:DWORD dst_unused:UNUSED_PAD src0_sel:WORD_1 src1_sel:DWORD
	v_add_f16_e32 v14, v8, v14
	v_fma_f16 v15, v26, s15, -v48
	v_mul_f16_sdwa v51, v23, s7 dst_sel:DWORD dst_unused:UNUSED_PAD src0_sel:WORD_1 src1_sel:DWORD
	v_add_f16_e32 v14, v15, v14
	v_fma_f16 v15, v24, s10, v51
	v_mul_f16_sdwa v52, v26, s15 dst_sel:DWORD dst_unused:UNUSED_PAD src0_sel:WORD_1 src1_sel:DWORD
	s_mov_b32 s17, 0xb94e
	v_add_f16_sdwa v15, v8, v15 dst_sel:DWORD dst_unused:UNUSED_PAD src0_sel:WORD_1 src1_sel:DWORD
	v_fma_f16 v16, v27, s4, v52
	v_mul_f16_sdwa v58, v24, s17 dst_sel:DWORD dst_unused:UNUSED_PAD src0_sel:WORD_1 src1_sel:DWORD
	s_movk_i32 s18, 0x3bf1
	v_add_f16_e32 v15, v16, v15
	v_fma_f16 v16, v23, s15, -v58
	v_mul_f16_sdwa v59, v27, s18 dst_sel:DWORD dst_unused:UNUSED_PAD src0_sel:WORD_1 src1_sel:DWORD
	v_add_f16_e32 v16, v8, v16
	v_fma_f16 v17, v26, s11, -v59
	v_mul_f16_sdwa v68, v23, s15 dst_sel:DWORD dst_unused:UNUSED_PAD src0_sel:WORD_1 src1_sel:DWORD
	v_add_f16_e32 v18, v17, v16
	v_fma_f16 v16, v24, s17, v68
	v_mul_f16_sdwa v69, v26, s11 dst_sel:DWORD dst_unused:UNUSED_PAD src0_sel:WORD_1 src1_sel:DWORD
	v_pk_add_f16 v36, v13, v10 neg_lo:[0,1] neg_hi:[0,1]
	v_add_f16_sdwa v16, v8, v16 dst_sel:DWORD dst_unused:UNUSED_PAD src0_sel:WORD_1 src1_sel:DWORD
	v_fma_f16 v17, v27, s18, v69
	v_pk_add_f16 v32, v10, v13
	v_mul_f16_sdwa v44, v36, s16 dst_sel:DWORD dst_unused:UNUSED_PAD src0_sel:WORD_1 src1_sel:DWORD
	v_add_f16_e32 v19, v17, v16
	v_fma_f16 v16, v32, s14, -v44
	v_mul_f16_sdwa v46, v32, s14 dst_sel:DWORD dst_unused:UNUSED_PAD src0_sel:WORD_1 src1_sel:DWORD
	s_movk_i32 s5, 0x3b7b
	v_add_f16_e32 v1, v16, v1
	v_fma_f16 v16, v36, s16, v46
	v_mul_f16_sdwa v50, v36, s5 dst_sel:DWORD dst_unused:UNUSED_PAD src0_sel:WORD_1 src1_sel:DWORD
	v_add_f16_e32 v4, v16, v4
	v_fma_f16 v16, v32, s7, -v50
	v_mul_f16_sdwa v54, v32, s7 dst_sel:DWORD dst_unused:UNUSED_PAD src0_sel:WORD_1 src1_sel:DWORD
	s_movk_i32 s20, 0x3770
	v_add_f16_e32 v5, v16, v5
	v_fma_f16 v16, v36, s5, v54
	s_movk_i32 s19, 0x3b15
	v_mul_f16_sdwa v57, v36, s20 dst_sel:DWORD dst_unused:UNUSED_PAD src0_sel:WORD_1 src1_sel:DWORD
	v_add_f16_e32 v7, v16, v7
	v_fma_f16 v16, v32, s19, -v57
	v_mul_f16_sdwa v62, v32, s19 dst_sel:DWORD dst_unused:UNUSED_PAD src0_sel:WORD_1 src1_sel:DWORD
	v_add_f16_e32 v21, v16, v14
	v_fma_f16 v14, v36, s20, v62
	v_add_f16_e32 v22, v14, v15
	v_add_u32_e32 v14, 0x600, v20
	ds_read2_b32 v[16:17], v14 offset0:120 offset1:246
	v_add_u32_e32 v14, 0xe00, v20
	ds_read2_b32 v[14:15], v14 offset0:112 offset1:238
	v_mul_f16_sdwa v71, v36, s2 dst_sel:DWORD dst_unused:UNUSED_PAD src0_sel:WORD_1 src1_sel:DWORD
	v_fma_f16 v29, v32, s6, -v71
	v_mul_f16_sdwa v81, v32, s6 dst_sel:DWORD dst_unused:UNUSED_PAD src0_sel:WORD_1 src1_sel:DWORD
	v_add_f16_e32 v18, v29, v18
	s_waitcnt lgkmcnt(0)
	v_pk_add_f16 v41, v16, v15 neg_lo:[0,1] neg_hi:[0,1]
	v_fma_f16 v29, v36, s2, v81
	v_pk_add_f16 v39, v15, v16
	v_mul_f16_sdwa v53, v41, s4 dst_sel:DWORD dst_unused:UNUSED_PAD src0_sel:WORD_1 src1_sel:DWORD
	v_add_f16_e32 v19, v29, v19
	v_fma_f16 v29, v39, s15, -v53
	v_mul_f16_sdwa v55, v39, s15 dst_sel:DWORD dst_unused:UNUSED_PAD src0_sel:WORD_1 src1_sel:DWORD
	v_add_f16_e32 v1, v29, v1
	v_fma_f16 v29, v41, s4, v55
	v_mul_f16_sdwa v60, v41, s20 dst_sel:DWORD dst_unused:UNUSED_PAD src0_sel:WORD_1 src1_sel:DWORD
	v_add_f16_e32 v4, v29, v4
	v_fma_f16 v29, v39, s19, -v60
	v_mul_f16_sdwa v64, v39, s19 dst_sel:DWORD dst_unused:UNUSED_PAD src0_sel:WORD_1 src1_sel:DWORD
	v_add_f16_e32 v5, v29, v5
	v_fma_f16 v29, v41, s20, v64
	v_mul_f16_sdwa v70, v41, s3 dst_sel:DWORD dst_unused:UNUSED_PAD src0_sel:WORD_1 src1_sel:DWORD
	v_add_f16_e32 v7, v29, v7
	v_fma_f16 v29, v39, s11, -v70
	v_mul_f16_sdwa v76, v39, s11 dst_sel:DWORD dst_unused:UNUSED_PAD src0_sel:WORD_1 src1_sel:DWORD
	s_movk_i32 s4, 0x33a8
	v_add_f16_e32 v21, v29, v21
	v_fma_f16 v29, v41, s3, v76
	v_mul_f16_sdwa v82, v41, s4 dst_sel:DWORD dst_unused:UNUSED_PAD src0_sel:WORD_1 src1_sel:DWORD
	v_add_f16_e32 v22, v29, v22
	v_fma_f16 v29, v39, s14, -v82
	v_mul_f16_sdwa v91, v39, s14 dst_sel:DWORD dst_unused:UNUSED_PAD src0_sel:WORD_1 src1_sel:DWORD
	v_pk_add_f16 v49, v17, v14 neg_lo:[0,1] neg_hi:[0,1]
	v_add_f16_e32 v18, v29, v18
	v_fma_f16 v29, v41, s4, v91
	v_pk_add_f16 v45, v14, v17
	v_mul_f16_sdwa v61, v49, s18 dst_sel:DWORD dst_unused:UNUSED_PAD src0_sel:WORD_1 src1_sel:DWORD
	v_add_f16_e32 v19, v29, v19
	v_fma_f16 v29, v45, s11, -v61
	v_mul_f16_sdwa v65, v45, s11 dst_sel:DWORD dst_unused:UNUSED_PAD src0_sel:WORD_1 src1_sel:DWORD
	v_add_f16_e32 v1, v29, v1
	v_fma_f16 v29, v49, s18, v65
	v_mul_f16_sdwa v72, v49, s2 dst_sel:DWORD dst_unused:UNUSED_PAD src0_sel:WORD_1 src1_sel:DWORD
	v_add_f16_e32 v29, v29, v4
	v_fma_f16 v4, v45, s6, -v72
	v_mul_f16_sdwa v77, v45, s6 dst_sel:DWORD dst_unused:UNUSED_PAD src0_sel:WORD_1 src1_sel:DWORD
	v_add_f16_e32 v100, v4, v5
	v_fma_f16 v4, v49, s2, v77
	;; [unrolled: 6-line block ×4, first 2 shown]
	v_add_u32_e32 v5, 0xa00, v20
	v_add_f16_e32 v86, v4, v19
	ds_read2_b32 v[18:19], v5 offset0:116 offset1:242
	s_mov_b32 s4, 0xb770
	v_pk_mul_f16 v87, v24, s4 op_sel_hi:[1,0]
	v_pk_fma_f16 v66, v23, s19, v87 op_sel:[0,0,1] op_sel_hi:[1,0,0] neg_lo:[0,0,1] neg_hi:[0,0,1]
	v_pk_mul_f16 v88, v27, s2 op_sel_hi:[1,0]
	v_pk_fma_f16 v67, v26, s6, v88 op_sel:[0,0,1] op_sel_hi:[1,0,0] neg_lo:[0,0,1] neg_hi:[0,0,1]
	v_add_f16_e32 v4, v8, v66
	v_pk_mul_f16 v89, v36, s3 op_sel_hi:[1,0]
	s_waitcnt lgkmcnt(0)
	v_pk_add_f16 v56, v19, v18
	v_add_f16_e32 v4, v67, v4
	v_pk_fma_f16 v73, v32, s11, v89 op_sel:[0,0,1] op_sel_hi:[1,0,0] neg_lo:[0,0,1] neg_hi:[0,0,1]
	v_pk_mul_f16 v90, v41, s10 op_sel_hi:[1,0]
	v_pk_add_f16 v63, v18, v19 neg_lo:[0,1] neg_hi:[0,1]
	v_mul_f16_sdwa v93, v56, s15 dst_sel:DWORD dst_unused:UNUSED_PAD src0_sel:WORD_1 src1_sel:DWORD
	s_movk_i32 s21, 0x3a95
	v_add_f16_e32 v4, v73, v4
	v_pk_fma_f16 v74, v39, s7, v90 op_sel:[0,0,1] op_sel_hi:[1,0,0] neg_lo:[0,0,1] neg_hi:[0,0,1]
	v_pk_mul_f16 v96, v49, s17 op_sel_hi:[1,0]
	v_fma_f16 v21, v63, s17, v93
	v_mul_f16_sdwa v95, v63, s21 dst_sel:DWORD dst_unused:UNUSED_PAD src0_sel:WORD_1 src1_sel:DWORD
	v_add_f16_e32 v4, v74, v4
	v_pk_fma_f16 v75, v45, s15, v96 op_sel:[0,0,1] op_sel_hi:[1,0,0] neg_lo:[0,0,1] neg_hi:[0,0,1]
	v_mul_f16_sdwa v80, v63, s20 dst_sel:DWORD dst_unused:UNUSED_PAD src0_sel:WORD_1 src1_sel:DWORD
	v_add_f16_e32 v21, v21, v7
	v_fma_f16 v7, v56, s6, -v95
	v_mul_f16_sdwa v97, v56, s6 dst_sel:DWORD dst_unused:UNUSED_PAD src0_sel:WORD_1 src1_sel:DWORD
	v_add_f16_e32 v5, v75, v4
	v_fma_f16 v4, v56, s19, -v80
	v_mul_f16_sdwa v84, v56, s19 dst_sel:DWORD dst_unused:UNUSED_PAD src0_sel:WORD_1 src1_sel:DWORD
	v_add_f16_e32 v33, v7, v30
	v_fma_f16 v7, v63, s21, v97
	v_mul_f16_sdwa v98, v63, s10 dst_sel:DWORD dst_unused:UNUSED_PAD src0_sel:WORD_1 src1_sel:DWORD
	v_add_f16_e32 v4, v4, v1
	v_fma_f16 v1, v63, s20, v84
	v_add_f16_e32 v35, v7, v22
	v_fma_f16 v7, v56, s7, -v98
	v_mul_f16_sdwa v99, v56, s7 dst_sel:DWORD dst_unused:UNUSED_PAD src0_sel:WORD_1 src1_sel:DWORD
	v_add_f16_e32 v1, v1, v29
	v_add_f16_e32 v29, v7, v85
	v_fma_f16 v7, v63, s10, v99
	v_pk_fma_f16 v85, v23, s19, v87 op_sel:[0,0,1] op_sel_hi:[1,0,0]
	v_add_f16_e32 v30, v7, v86
	v_pk_fma_f16 v86, v26, s6, v88 op_sel:[0,0,1] op_sel_hi:[1,0,0]
	v_add_f16_sdwa v7, v8, v85 dst_sel:DWORD dst_unused:UNUSED_PAD src0_sel:WORD_1 src1_sel:WORD_1
	v_pk_fma_f16 v87, v32, s11, v89 op_sel:[0,0,1] op_sel_hi:[1,0,0]
	v_add_f16_sdwa v7, v86, v7 dst_sel:DWORD dst_unused:UNUSED_PAD src0_sel:WORD_1 src1_sel:DWORD
	v_pk_fma_f16 v88, v39, s7, v90 op_sel:[0,0,1] op_sel_hi:[1,0,0]
	v_add_f16_sdwa v7, v87, v7 dst_sel:DWORD dst_unused:UNUSED_PAD src0_sel:WORD_1 src1_sel:DWORD
	v_pk_mul_f16 v101, v63, s16 op_sel_hi:[1,0]
	v_pk_fma_f16 v89, v45, s15, v96 op_sel:[0,0,1] op_sel_hi:[1,0,0]
	v_add_f16_sdwa v7, v88, v7 dst_sel:DWORD dst_unused:UNUSED_PAD src0_sel:WORD_1 src1_sel:DWORD
	v_pk_fma_f16 v90, v56, s14, v101 op_sel:[0,0,1] op_sel_hi:[1,0,0]
	v_add_f16_sdwa v7, v89, v7 dst_sel:DWORD dst_unused:UNUSED_PAD src0_sel:WORD_1 src1_sel:DWORD
	v_mul_f16_sdwa v96, v63, s17 dst_sel:DWORD dst_unused:UNUSED_PAD src0_sel:WORD_1 src1_sel:DWORD
	v_pk_fma_f16 v78, v56, s14, v101 op_sel:[0,0,1] op_sel_hi:[1,0,0] neg_lo:[0,0,1] neg_hi:[0,0,1]
	v_add_f16_sdwa v22, v90, v7 dst_sel:DWORD dst_unused:UNUSED_PAD src0_sel:WORD_1 src1_sel:DWORD
	v_fma_f16 v7, v56, s15, -v96
	s_movk_i32 s2, 0x7e
	v_add_f16_e32 v5, v78, v5
	v_add_f16_e32 v7, v7, v100
	v_cmp_gt_u32_e64 s[2:3], s2, v0
	s_barrier
	s_and_saveexec_b64 s[4:5], s[2:3]
	s_cbranch_execz .LBB0_21
; %bb.20:
	v_mul_f16_e32 v107, 0xb94e, v24
	v_mul_f16_e32 v115, 0x3bf1, v27
	v_sub_f16_e32 v68, v68, v107
	v_mul_f16_e32 v123, 0xba95, v36
	v_sub_f16_e32 v69, v69, v115
	v_add_f16_sdwa v68, v8, v68 dst_sel:DWORD dst_unused:UNUSED_PAD src0_sel:WORD_1 src1_sel:DWORD
	v_add_f16_e32 v68, v69, v68
	v_sub_f16_e32 v81, v81, v123
	v_add_f16_e32 v68, v81, v68
	v_mul_f16_e32 v81, 0x33a8, v41
	v_pk_add_f16 v9, v8, v9
	v_mul_f16_e32 v100, 0x388b, v23
	v_sub_f16_e32 v81, v91, v81
	v_pk_add_f16 v9, v9, v12
	v_mul_f16_e32 v101, 0xba95, v24
	v_mul_f16_e32 v106, 0xb9fd, v23
	;; [unrolled: 1-line block ×3, first 2 shown]
	v_add_f16_e32 v68, v81, v68
	v_mul_f16_e32 v81, 0x3770, v49
	v_add_f16_e32 v28, v100, v28
	v_pk_add_f16 v9, v9, v13
	v_mul_f16_e32 v102, 0x2fb7, v23
	v_mul_f16_e32 v109, 0xbb7b, v27
	;; [unrolled: 1-line block ×4, first 2 shown]
	v_sub_f16_e32 v81, v94, v81
	v_add_f16_e32 v58, v106, v58
	v_sub_f16_e32 v31, v31, v101
	v_add_f16_e32 v28, v8, v28
	v_add_f16_e32 v34, v108, v34
	v_pk_add_f16 v9, v9, v16
	v_mul_f16_e32 v103, 0xbbf1, v24
	v_mul_f16_e32 v110, 0xbbc4, v26
	;; [unrolled: 1-line block ×5, first 2 shown]
	v_add_f16_e32 v68, v81, v68
	v_mul_f16_e32 v81, 0xbb7b, v63
	v_add_f16_e32 v59, v114, v59
	v_add_f16_e32 v58, v8, v58
	;; [unrolled: 1-line block ×3, first 2 shown]
	v_add_f16_sdwa v31, v8, v31 dst_sel:DWORD dst_unused:UNUSED_PAD src0_sel:WORD_1 src1_sel:DWORD
	v_sub_f16_e32 v37, v37, v109
	v_add_f16_e32 v28, v34, v28
	v_add_f16_e32 v34, v116, v44
	v_pk_add_f16 v9, v9, v17
	v_mul_f16_e32 v111, 0xb3a8, v27
	v_mul_f16_e32 v118, 0xb5ac, v32
	;; [unrolled: 1-line block ×4, first 2 shown]
	v_sub_f16_e32 v81, v99, v81
	v_mul_f16_e32 v99, 0x2fb7, v45
	v_add_f16_e32 v58, v59, v58
	v_add_f16_e32 v71, v122, v71
	v_sub_f16_e32 v42, v42, v103
	v_add_f16_e32 v38, v8, v38
	v_add_f16_e32 v40, v110, v40
	;; [unrolled: 1-line block ×3, first 2 shown]
	v_sub_f16_e32 v37, v46, v117
	v_add_f16_e32 v28, v34, v28
	v_add_f16_e32 v34, v124, v53
	v_pk_add_f16 v9, v9, v18
	v_mul_f16_e32 v119, 0x3b7b, v36
	v_mul_f16_e32 v115, 0x3b15, v39
	v_add_f16_e32 v68, v81, v68
	v_mul_f16_e32 v81, 0x3bf1, v49
	v_add_f16_e32 v58, v71, v58
	;; [unrolled: 2-line block ×3, first 2 shown]
	v_mul_f16_e32 v94, 0x3b15, v56
	v_add_f16_sdwa v42, v8, v42 dst_sel:DWORD dst_unused:UNUSED_PAD src0_sel:WORD_1 src1_sel:DWORD
	v_sub_f16_e32 v43, v43, v111
	v_add_f16_e32 v38, v40, v38
	v_add_f16_e32 v40, v118, v50
	;; [unrolled: 1-line block ×3, first 2 shown]
	v_sub_f16_e32 v37, v55, v107
	v_add_f16_e32 v28, v34, v28
	v_add_f16_e32 v34, v99, v61
	v_pk_add_f16 v9, v9, v19
	v_mul_f16_e32 v104, 0xb5ac, v23
	v_mul_f16_e32 v69, 0x3770, v41
	;; [unrolled: 1-line block ×3, first 2 shown]
	v_add_f16_e32 v58, v82, v58
	v_mul_f16_e32 v82, 0x3770, v63
	v_add_f16_e32 v71, v71, v92
	v_add_f16_e32 v42, v43, v42
	v_sub_f16_e32 v43, v54, v119
	v_add_f16_e32 v38, v40, v38
	v_add_f16_e32 v40, v115, v60
	;; [unrolled: 1-line block ×3, first 2 shown]
	v_sub_f16_e32 v37, v65, v81
	v_add_f16_e32 v28, v34, v28
	v_add_f16_e32 v34, v94, v80
	s_mov_b32 s2, 0xffff
	v_pk_add_f16 v9, v9, v14
	v_mul_f16_e32 v105, 0xbb7b, v24
	v_mul_f16_e32 v112, 0xb9fd, v26
	;; [unrolled: 1-line block ×4, first 2 shown]
	v_add_f16_e32 v58, v71, v58
	v_mul_f16_e32 v71, 0xb5ac, v56
	v_add_f16_e32 v47, v104, v47
	v_add_f16_e32 v42, v43, v42
	v_sub_f16_e32 v43, v64, v69
	v_add_f16_e32 v38, v40, v38
	v_add_f16_e32 v40, v106, v72
	;; [unrolled: 1-line block ×3, first 2 shown]
	v_sub_f16_e32 v37, v84, v82
	v_add_f16_e32 v28, v34, v28
	v_bfi_b32 v34, s2, v85, v66
	v_pk_add_f16 v9, v9, v15
	v_mul_f16_e32 v113, 0x394e, v27
	v_mul_f16_e32 v120, 0x3b15, v32
	v_add_f16_e32 v71, v71, v98
	v_mul_f16_e32 v98, 0xb94e, v63
	v_sub_f16_e32 v51, v51, v105
	v_add_f16_e32 v47, v8, v47
	v_add_f16_e32 v48, v112, v48
	;; [unrolled: 1-line block ×3, first 2 shown]
	v_sub_f16_e32 v43, v77, v114
	v_add_f16_e32 v38, v40, v38
	v_add_f16_e32 v40, v92, v96
	;; [unrolled: 1-line block ×3, first 2 shown]
	v_bfi_b32 v37, s2, v86, v67
	v_pk_add_f16 v9, v9, v10
	v_pk_add_f16 v10, v8, v34
	v_mul_f16_e32 v121, 0x3770, v36
	v_mul_f16_e32 v123, 0x2fb7, v39
	v_add_f16_sdwa v51, v8, v51 dst_sel:DWORD dst_unused:UNUSED_PAD src0_sel:WORD_1 src1_sel:DWORD
	v_sub_f16_e32 v52, v52, v113
	v_add_f16_e32 v47, v48, v47
	v_add_f16_e32 v48, v120, v57
	;; [unrolled: 1-line block ×3, first 2 shown]
	v_sub_f16_e32 v43, v93, v98
	v_add_f16_e32 v38, v40, v38
	v_bfi_b32 v40, s2, v87, v73
	v_pk_add_f16 v10, v37, v10
	v_mul_f16_e32 v91, 0xbbf1, v41
	v_mul_f16_e32 v59, 0xbbc4, v45
	v_add_f16_e32 v51, v52, v51
	v_sub_f16_e32 v52, v62, v121
	v_add_f16_e32 v47, v48, v47
	v_add_f16_e32 v48, v123, v70
	;; [unrolled: 1-line block ×3, first 2 shown]
	v_bfi_b32 v43, s2, v88, v74
	v_pk_add_f16 v10, v40, v10
	v_mul_f16_e32 v122, 0x33a8, v49
	v_add_f16_e32 v58, v71, v58
	v_mul_f16_e32 v71, 0x388b, v56
	v_add_f16_e32 v51, v52, v51
	v_sub_f16_e32 v52, v76, v91
	v_add_f16_e32 v47, v48, v47
	v_add_f16_e32 v48, v59, v79
	v_bfi_b32 v44, s2, v89, v75
	v_pk_add_f16 v10, v43, v10
	v_mul_f16_e32 v105, 0x3a95, v63
	v_add_f16_e32 v51, v52, v51
	v_sub_f16_e32 v52, v83, v122
	v_add_f16_e32 v47, v48, v47
	v_add_f16_e32 v48, v71, v95
	v_bfi_b32 v46, s2, v90, v78
	v_pk_add_f16 v9, v9, v11
	v_pk_add_f16 v10, v44, v10
	v_add_f16_e32 v51, v52, v51
	v_sub_f16_e32 v52, v97, v105
	v_add_f16_e32 v47, v48, v47
	v_mad_u32_u24 v48, v0, 48, v20
	v_pk_add_f16 v9, v9, v25
	v_pk_add_f16 v10, v46, v10
	v_add_f16_e32 v51, v52, v51
	ds_write2_b32 v48, v9, v10 offset1:1
	v_pack_b32_f16 v9, v38, v42
	v_pack_b32_f16 v10, v28, v31
	ds_write2_b32 v48, v10, v9 offset0:2 offset1:3
	v_pack_b32_f16 v9, v58, v68
	v_pack_b32_f16 v10, v47, v51
	ds_write2_b32 v48, v10, v9 offset0:4 offset1:5
	v_pk_mul_f16 v9, v24, s16 op_sel_hi:[1,0]
	v_pk_mul_f16 v10, v27, s20 op_sel_hi:[1,0]
	v_pk_fma_f16 v15, v23, s14, v9 op_sel:[0,0,1] op_sel_hi:[1,0,0]
	v_pk_fma_f16 v9, v23, s14, v9 op_sel:[0,0,1] op_sel_hi:[1,0,0] neg_lo:[0,0,1] neg_hi:[0,0,1]
	v_bfi_b32 v16, s2, v15, v9
	v_pk_fma_f16 v17, v26, s19, v10 op_sel:[0,0,1] op_sel_hi:[1,0,0]
	v_pk_fma_f16 v10, v26, s19, v10 op_sel:[0,0,1] op_sel_hi:[1,0,0] neg_lo:[0,0,1] neg_hi:[0,0,1]
	v_pk_mul_f16 v11, v36, s17 op_sel_hi:[1,0]
	v_pk_add_f16 v16, v8, v16
	v_bfi_b32 v18, s2, v17, v10
	v_pk_add_f16 v16, v18, v16
	v_pk_fma_f16 v18, v32, s15, v11 op_sel:[0,0,1] op_sel_hi:[1,0,0]
	v_pk_fma_f16 v11, v32, s15, v11 op_sel:[0,0,1] op_sel_hi:[1,0,0] neg_lo:[0,0,1] neg_hi:[0,0,1]
	v_pk_mul_f16 v12, v41, s21 op_sel_hi:[1,0]
	v_bfi_b32 v19, s2, v18, v11
	v_pk_add_f16 v16, v19, v16
	v_pk_fma_f16 v19, v39, s6, v12 op_sel:[0,0,1] op_sel_hi:[1,0,0]
	v_pk_fma_f16 v12, v39, s6, v12 op_sel:[0,0,1] op_sel_hi:[1,0,0] neg_lo:[0,0,1] neg_hi:[0,0,1]
	v_bfi_b32 v9, s2, v9, v15
	v_pk_mul_f16 v13, v49, s10 op_sel_hi:[1,0]
	v_bfi_b32 v23, s2, v19, v12
	v_pk_add_f16 v8, v8, v9
	v_bfi_b32 v9, s2, v10, v17
	v_pk_add_f16 v16, v23, v16
	v_pk_fma_f16 v23, v45, s7, v13 op_sel:[0,0,1] op_sel_hi:[1,0,0]
	v_pk_fma_f16 v13, v45, s7, v13 op_sel:[0,0,1] op_sel_hi:[1,0,0] neg_lo:[0,0,1] neg_hi:[0,0,1]
	v_pk_add_f16 v8, v9, v8
	v_bfi_b32 v9, s2, v11, v18
	v_pk_mul_f16 v14, v63, s18 op_sel_hi:[1,0]
	v_bfi_b32 v24, s2, v23, v13
	v_pk_add_f16 v8, v9, v8
	v_bfi_b32 v9, s2, v12, v19
	v_pk_add_f16 v16, v24, v16
	v_pk_fma_f16 v24, v56, s11, v14 op_sel:[0,0,1] op_sel_hi:[1,0,0]
	v_pk_fma_f16 v14, v56, s11, v14 op_sel:[0,0,1] op_sel_hi:[1,0,0] neg_lo:[0,0,1] neg_hi:[0,0,1]
	v_pk_add_f16 v8, v9, v8
	v_bfi_b32 v9, s2, v13, v23
	v_bfi_b32 v25, s2, v24, v14
	v_pk_add_f16 v8, v9, v8
	v_bfi_b32 v9, s2, v14, v24
	v_pk_add_f16 v16, v25, v16
	v_pk_add_f16 v8, v9, v8
	s_mov_b32 s2, 0x5040100
	ds_write2_b32 v48, v16, v8 offset0:6 offset1:7
	v_perm_b32 v8, v35, v33, s2
	v_perm_b32 v9, v30, v29, s2
	ds_write2_b32 v48, v9, v8 offset0:8 offset1:9
	v_perm_b32 v8, v1, v4, s2
	v_perm_b32 v9, v21, v7, s2
	ds_write2_b32 v48, v9, v8 offset0:10 offset1:11
	v_perm_b32 v8, v22, v5, s2
	ds_write_b32 v48, v8 offset:48
.LBB0_21:
	s_or_b64 exec, exec, s[4:5]
	v_add_u32_e32 v10, 0xc00, v20
	s_waitcnt lgkmcnt(0)
	s_barrier
	ds_read2_b32 v[12:13], v10 offset0:51 offset1:233
	v_add_u32_e32 v10, 0x500, v20
	ds_read2_b32 v[8:9], v20 offset1:182
	ds_read2_b32 v[10:11], v10 offset0:44 offset1:226
	ds_read2_b32 v[14:15], v6 offset0:31 offset1:213
	s_and_saveexec_b64 s[2:3], vcc
	s_cbranch_execz .LBB0_23
; %bb.22:
	ds_read_b32 v29, v20 offset:2912
	ds_read_b32 v33, v20 offset:6188
	s_waitcnt lgkmcnt(1)
	v_lshrrev_b32_e32 v30, 16, v29
	s_waitcnt lgkmcnt(0)
	v_lshrrev_b32_e32 v35, 16, v33
.LBB0_23:
	s_or_b64 exec, exec, s[2:3]
	s_movk_i32 s2, 0x4f
	v_add_u32_e32 v17, 0xb6, v0
	v_mul_lo_u16_sdwa v25, v0, s2 dst_sel:DWORD dst_unused:UNUSED_PAD src0_sel:BYTE_0 src1_sel:DWORD
	s_movk_i32 s2, 0x4ec5
	v_lshrrev_b16_e32 v28, 10, v25
	v_mul_u32_u24_sdwa v23, v17, s2 dst_sel:DWORD dst_unused:UNUSED_PAD src0_sel:WORD_0 src1_sel:DWORD
	v_mul_lo_u16_e32 v19, 13, v28
	v_lshrrev_b32_e32 v32, 18, v23
	v_add_u32_e32 v16, 0x16c, v0
	v_sub_u16_e32 v31, v0, v19
	v_mul_lo_u16_e32 v19, 13, v32
	v_sub_u16_e32 v34, v17, v19
	v_mul_u32_u24_sdwa v19, v16, s2 dst_sel:DWORD dst_unused:UNUSED_PAD src0_sel:WORD_0 src1_sel:DWORD
	v_lshrrev_b32_e32 v36, 18, v19
	v_add_u32_e32 v6, 0x222, v0
	v_mul_lo_u16_e32 v24, 13, v36
	v_sub_u16_e32 v37, v16, v24
	v_mul_u32_u24_sdwa v24, v6, s2 dst_sel:DWORD dst_unused:UNUSED_PAD src0_sel:WORD_0 src1_sel:DWORD
	v_lshrrev_b32_e32 v38, 18, v24
	v_add_u32_e32 v18, 0x2d8, v0
	v_mul_lo_u16_e32 v24, 13, v38
	v_sub_u16_e32 v6, v6, v24
	v_mul_u32_u24_sdwa v24, v18, s2 dst_sel:DWORD dst_unused:UNUSED_PAD src0_sel:WORD_0 src1_sel:DWORD
	v_lshrrev_b32_e32 v26, 18, v24
	v_mul_lo_u16_e32 v24, 13, v26
	v_sub_u16_e32 v18, v18, v24
	v_lshlrev_b32_e32 v27, 2, v18
	v_mov_b32_e32 v24, 2
	v_lshlrev_b32_e32 v6, 2, v6
	global_load_dword v18, v27, s[8:9]
	v_lshlrev_b32_sdwa v31, v24, v31 dst_sel:DWORD dst_unused:UNUSED_PAD src0_sel:DWORD src1_sel:BYTE_0
	v_lshlrev_b32_e32 v34, 2, v34
	v_lshlrev_b32_e32 v37, 2, v37
	global_load_dword v39, v6, s[8:9]
	global_load_dword v40, v37, s[8:9]
	;; [unrolled: 1-line block ×4, first 2 shown]
	v_mul_u32_u24_e32 v28, 0x68, v28
	v_mul_u32_u24_e32 v32, 0x68, v32
	;; [unrolled: 1-line block ×4, first 2 shown]
	v_add3_u32 v28, 0, v28, v31
	v_add3_u32 v31, 0, v32, v34
	;; [unrolled: 1-line block ×4, first 2 shown]
	s_mov_b32 s2, 0xffff
	s_waitcnt vmcnt(0) lgkmcnt(0)
	s_barrier
	v_mul_f16_sdwa v6, v35, v18 dst_sel:DWORD dst_unused:UNUSED_PAD src0_sel:DWORD src1_sel:WORD_1
	v_pk_mul_f16 v37, v39, v15 op_sel:[0,1]
	v_mul_f16_sdwa v36, v33, v18 dst_sel:DWORD dst_unused:UNUSED_PAD src0_sel:DWORD src1_sel:WORD_1
	v_pk_mul_f16 v38, v40, v14 op_sel:[0,1]
	v_pk_mul_f16 v44, v42, v12 op_sel:[0,1]
	;; [unrolled: 1-line block ×3, first 2 shown]
	v_fma_f16 v6, v33, v18, v6
	v_pk_fma_f16 v33, v39, v15, v37 op_sel:[0,0,1] op_sel_hi:[1,1,0]
	v_pk_fma_f16 v15, v39, v15, v37 op_sel:[0,0,1] op_sel_hi:[1,0,0] neg_lo:[1,0,0] neg_hi:[1,0,0]
	v_pk_fma_f16 v37, v42, v12, v44 op_sel:[0,0,1] op_sel_hi:[1,1,0]
	v_pk_fma_f16 v12, v42, v12, v44 op_sel:[0,0,1] op_sel_hi:[1,0,0] neg_lo:[1,0,0] neg_hi:[1,0,0]
	v_fma_f16 v18, v35, v18, -v36
	v_pk_fma_f16 v35, v40, v14, v38 op_sel:[0,0,1] op_sel_hi:[1,1,0]
	v_pk_fma_f16 v14, v40, v14, v38 op_sel:[0,0,1] op_sel_hi:[1,0,0] neg_lo:[1,0,0] neg_hi:[1,0,0]
	v_pk_fma_f16 v36, v41, v13, v43 op_sel:[0,0,1] op_sel_hi:[1,1,0]
	v_pk_fma_f16 v13, v41, v13, v43 op_sel:[0,0,1] op_sel_hi:[1,0,0] neg_lo:[1,0,0] neg_hi:[1,0,0]
	v_bfi_b32 v12, s2, v37, v12
	v_bfi_b32 v15, s2, v33, v15
	;; [unrolled: 1-line block ×4, first 2 shown]
	v_pk_add_f16 v12, v8, v12 neg_lo:[0,1] neg_hi:[0,1]
	v_sub_f16_e32 v6, v29, v6
	v_sub_f16_e32 v18, v30, v18
	v_pk_add_f16 v15, v11, v15 neg_lo:[0,1] neg_hi:[0,1]
	v_pk_add_f16 v14, v10, v14 neg_lo:[0,1] neg_hi:[0,1]
	;; [unrolled: 1-line block ×3, first 2 shown]
	v_pk_fma_f16 v8, v8, 2.0, v12 op_sel_hi:[1,0,1] neg_lo:[0,0,1] neg_hi:[0,0,1]
	v_pk_fma_f16 v11, v11, 2.0, v15 op_sel_hi:[1,0,1] neg_lo:[0,0,1] neg_hi:[0,0,1]
	;; [unrolled: 1-line block ×4, first 2 shown]
	ds_write2_b32 v28, v8, v12 offset1:13
	ds_write2_b32 v31, v9, v13 offset1:13
	;; [unrolled: 1-line block ×4, first 2 shown]
	s_and_saveexec_b64 s[2:3], vcc
	s_cbranch_execz .LBB0_25
; %bb.24:
	v_mul_lo_u16_e32 v10, 26, v26
	v_fma_f16 v8, v29, 2.0, -v6
	v_fma_f16 v9, v30, 2.0, -v18
	v_lshlrev_b32_e32 v10, 2, v10
	s_mov_b32 s4, 0x5040100
	v_add3_u32 v10, 0, v27, v10
	v_pack_b32_f16 v8, v8, v9
	v_perm_b32 v9, v18, v6, s4
	ds_write2_b32 v10, v8, v9 offset1:13
.LBB0_25:
	s_or_b64 exec, exec, s[2:3]
	v_lshrrev_b16_e32 v31, 11, v25
	v_mul_lo_u16_e32 v8, 26, v31
	v_lshrrev_b32_e32 v33, 19, v23
	v_sub_u16_e32 v32, v0, v8
	v_mov_b32_e32 v8, 3
	v_mul_lo_u16_e32 v10, 26, v33
	v_lshrrev_b32_e32 v35, 19, v19
	v_lshlrev_b32_sdwa v8, v8, v32 dst_sel:DWORD dst_unused:UNUSED_PAD src0_sel:DWORD src1_sel:BYTE_0
	v_sub_u16_e32 v34, v17, v10
	v_mul_lo_u16_e32 v12, 26, v35
	s_waitcnt lgkmcnt(0)
	s_barrier
	global_load_dwordx2 v[8:9], v8, s[8:9] offset:52
	v_lshlrev_b32_e32 v10, 3, v34
	global_load_dwordx2 v[10:11], v10, s[8:9] offset:52
	v_sub_u16_e32 v36, v16, v12
	v_lshlrev_b32_e32 v12, 3, v36
	global_load_dwordx2 v[12:13], v12, s[8:9] offset:52
	v_add_u32_e32 v19, 0x500, v20
	v_add_u32_e32 v29, 0xb00, v20
	ds_read2_b32 v[14:15], v20 offset1:182
	v_add_u32_e32 v23, 0x1000, v20
	ds_read_b32 v37, v20 offset:5824
	ds_read2_b32 v[25:26], v19 offset0:44 offset1:226
	ds_read2_b32 v[27:28], v23 offset0:68 offset1:250
	;; [unrolled: 1-line block ×3, first 2 shown]
	s_mov_b32 s2, 0xbaee
	s_waitcnt lgkmcnt(4)
	v_lshrrev_b32_e32 v19, 16, v14
	s_waitcnt lgkmcnt(2)
	v_lshrrev_b32_e32 v40, 16, v26
	;; [unrolled: 2-line block ×4, first 2 shown]
	v_lshrrev_b32_e32 v43, 16, v28
	v_lshrrev_b32_e32 v38, 16, v37
	;; [unrolled: 1-line block ×4, first 2 shown]
	s_movk_i32 s3, 0x3aee
	v_lshrrev_b32_e32 v39, 16, v25
	s_waitcnt vmcnt(0)
	s_barrier
	v_cmp_gt_u32_e32 vcc, 52, v0
	v_mul_f16_sdwa v45, v8, v40 dst_sel:DWORD dst_unused:UNUSED_PAD src0_sel:WORD_1 src1_sel:DWORD
	v_mul_f16_sdwa v46, v8, v26 dst_sel:DWORD dst_unused:UNUSED_PAD src0_sel:WORD_1 src1_sel:DWORD
	v_mul_f16_sdwa v47, v9, v41 dst_sel:DWORD dst_unused:UNUSED_PAD src0_sel:WORD_1 src1_sel:DWORD
	v_mul_f16_sdwa v48, v9, v27 dst_sel:DWORD dst_unused:UNUSED_PAD src0_sel:WORD_1 src1_sel:DWORD
	v_mul_f16_sdwa v49, v10, v42 dst_sel:DWORD dst_unused:UNUSED_PAD src0_sel:WORD_1 src1_sel:DWORD
	v_mul_f16_sdwa v50, v10, v29 dst_sel:DWORD dst_unused:UNUSED_PAD src0_sel:WORD_1 src1_sel:DWORD
	v_mul_f16_sdwa v51, v11, v43 dst_sel:DWORD dst_unused:UNUSED_PAD src0_sel:WORD_1 src1_sel:DWORD
	v_mul_f16_sdwa v52, v11, v28 dst_sel:DWORD dst_unused:UNUSED_PAD src0_sel:WORD_1 src1_sel:DWORD
	v_fma_f16 v26, v8, v26, v45
	v_fma_f16 v8, v8, v40, -v46
	v_fma_f16 v27, v9, v27, v47
	v_fma_f16 v9, v9, v41, -v48
	v_mul_f16_sdwa v53, v12, v44 dst_sel:DWORD dst_unused:UNUSED_PAD src0_sel:WORD_1 src1_sel:DWORD
	v_mul_f16_sdwa v55, v38, v13 dst_sel:DWORD dst_unused:UNUSED_PAD src0_sel:DWORD src1_sel:WORD_1
	v_mul_f16_sdwa v56, v37, v13 dst_sel:DWORD dst_unused:UNUSED_PAD src0_sel:DWORD src1_sel:WORD_1
	v_fma_f16 v29, v10, v29, v49
	v_fma_f16 v10, v10, v42, -v50
	v_fma_f16 v28, v11, v28, v51
	v_fma_f16 v11, v11, v43, -v52
	v_sub_f16_e32 v41, v8, v9
	v_add_f16_e32 v42, v19, v8
	v_add_f16_e32 v8, v8, v9
	v_mul_f16_sdwa v54, v12, v30 dst_sel:DWORD dst_unused:UNUSED_PAD src0_sel:WORD_1 src1_sel:DWORD
	v_fma_f16 v30, v12, v30, v53
	v_fma_f16 v37, v37, v13, v55
	v_fma_f16 v13, v38, v13, -v56
	v_add_f16_e32 v38, v14, v26
	v_add_f16_e32 v40, v26, v27
	v_sub_f16_e32 v26, v26, v27
	v_sub_f16_e32 v45, v10, v11
	v_add_f16_e32 v46, v23, v10
	v_add_f16_e32 v10, v10, v11
	v_fma_f16 v8, v8, -0.5, v19
	v_fma_f16 v12, v12, v44, -v54
	v_add_f16_e32 v43, v15, v29
	v_add_f16_e32 v44, v29, v28
	v_sub_f16_e32 v29, v29, v28
	v_fma_f16 v14, v40, -0.5, v14
	v_fma_f16 v10, v10, -0.5, v23
	v_fma_f16 v40, v26, s3, v8
	v_fma_f16 v26, v26, s2, v8
	v_add_f16_e32 v8, v25, v30
	v_add_f16_e32 v27, v38, v27
	;; [unrolled: 1-line block ×4, first 2 shown]
	v_fma_f16 v9, v44, -0.5, v15
	v_fma_f16 v43, v29, s3, v10
	v_fma_f16 v10, v29, s2, v10
	v_add_f16_e32 v29, v8, v37
	v_add_f16_e32 v8, v30, v37
	v_fma_f16 v15, v41, s2, v14
	v_fma_f16 v14, v41, s3, v14
	;; [unrolled: 1-line block ×4, first 2 shown]
	v_fma_f16 v9, v8, -0.5, v25
	v_sub_f16_e32 v19, v12, v13
	v_fma_f16 v8, v19, s2, v9
	v_fma_f16 v9, v19, s3, v9
	v_add_f16_e32 v19, v39, v12
	v_add_f16_e32 v12, v12, v13
	;; [unrolled: 1-line block ×3, first 2 shown]
	v_fma_f16 v12, v12, -0.5, v39
	v_sub_f16_e32 v13, v30, v37
	v_fma_f16 v19, v13, s3, v12
	v_fma_f16 v23, v13, s2, v12
	v_mul_u32_u24_e32 v12, 0x138, v31
	v_lshlrev_b32_sdwa v13, v24, v32 dst_sel:DWORD dst_unused:UNUSED_PAD src0_sel:DWORD src1_sel:BYTE_0
	v_add3_u32 v12, 0, v12, v13
	v_pack_b32_f16 v13, v27, v38
	v_pack_b32_f16 v15, v15, v40
	ds_write2_b32 v12, v13, v15 offset1:26
	v_pack_b32_f16 v13, v14, v26
	v_add_f16_e32 v11, v46, v11
	ds_write_b32 v12, v13 offset:208
	v_mul_u32_u24_e32 v12, 0x138, v33
	v_lshlrev_b32_e32 v13, 2, v34
	v_add3_u32 v12, 0, v12, v13
	v_pack_b32_f16 v11, v28, v11
	v_pack_b32_f16 v13, v41, v43
	;; [unrolled: 1-line block ×3, first 2 shown]
	ds_write2_b32 v12, v11, v13 offset1:26
	ds_write_b32 v12, v10 offset:208
	v_mul_u32_u24_e32 v10, 0x138, v35
	v_lshlrev_b32_e32 v11, 2, v36
	v_add3_u32 v10, 0, v10, v11
	v_pack_b32_f16 v11, v29, v25
	v_pack_b32_f16 v12, v8, v19
	ds_write2_b32 v10, v11, v12 offset1:26
	v_pack_b32_f16 v11, v9, v23
	v_add_u32_e32 v12, 0x700, v20
	v_add_u32_e32 v14, 0xe80, v20
	ds_write_b32 v10, v11 offset:208
	s_waitcnt lgkmcnt(0)
	s_barrier
	ds_read2_b32 v[10:11], v20 offset1:234
	ds_read2_b32 v[12:13], v12 offset0:20 offset1:254
	ds_read2_b32 v[14:15], v14 offset0:8 offset1:242
	ds_read_b32 v26, v20 offset:5616
                                        ; implicit-def: $vgpr24
                                        ; implicit-def: $vgpr25
	s_and_saveexec_b64 s[2:3], vcc
	s_cbranch_execz .LBB0_27
; %bb.26:
	v_add_u32_e32 v1, 0x2c0, v20
	ds_read2_b32 v[8:9], v1 offset0:6 offset1:240
	v_add_u32_e32 v1, 0xa00, v20
	ds_read2_b32 v[6:7], v1 offset0:10 offset1:244
	;; [unrolled: 2-line block ×3, first 2 shown]
	ds_read_u16 v18, v20 offset:2602
	ds_read_b32 v25, v20 offset:6344
	s_waitcnt lgkmcnt(4)
	v_lshrrev_b32_e32 v19, 16, v8
	v_lshrrev_b32_e32 v23, 16, v9
	s_waitcnt lgkmcnt(3)
	v_lshrrev_b32_e32 v21, 16, v7
	s_waitcnt lgkmcnt(2)
	v_lshrrev_b32_e32 v1, 16, v4
	v_lshrrev_b32_e32 v22, 16, v5
	s_waitcnt lgkmcnt(0)
	v_lshrrev_b32_e32 v24, 16, v25
.LBB0_27:
	s_or_b64 exec, exec, s[2:3]
	v_lshrrev_b16_e32 v27, 1, v0
	v_and_b32_e32 v27, 0x7f, v27
	v_mul_lo_u16_e32 v27, 0xd3, v27
	v_lshrrev_b16_e32 v33, 13, v27
	v_mul_lo_u16_e32 v27, 0x4e, v33
	v_sub_u16_e32 v34, v0, v27
	v_mov_b32_e32 v27, 6
	v_mul_u32_u24_sdwa v27, v34, v27 dst_sel:DWORD dst_unused:UNUSED_PAD src0_sel:BYTE_0 src1_sel:DWORD
	v_lshlrev_b32_e32 v35, 2, v27
	global_load_dwordx4 v[27:30], v35, s[8:9] offset:260
	global_load_dwordx2 v[31:32], v35, s[8:9] offset:276
	s_waitcnt lgkmcnt(3)
	v_lshrrev_b32_e32 v35, 16, v11
	s_waitcnt lgkmcnt(2)
	v_lshrrev_b32_e32 v36, 16, v12
	;; [unrolled: 2-line block ×4, first 2 shown]
	v_lshrrev_b32_e32 v37, 16, v13
	v_lshrrev_b32_e32 v38, 16, v14
	s_movk_i32 s7, 0x2b26
	s_mov_b32 s4, 0xbb00
	s_mov_b32 s6, 0xbcab
	s_movk_i32 s5, 0x39e0
	s_mov_b32 s10, 0xb9e0
	s_mov_b32 s14, 0xb574
	s_movk_i32 s15, 0x3574
	s_mov_b32 s11, 0xb70e
	s_waitcnt vmcnt(0)
	s_barrier
	v_mul_f16_sdwa v41, v27, v35 dst_sel:DWORD dst_unused:UNUSED_PAD src0_sel:WORD_1 src1_sel:DWORD
	v_mul_f16_sdwa v42, v27, v11 dst_sel:DWORD dst_unused:UNUSED_PAD src0_sel:WORD_1 src1_sel:DWORD
	;; [unrolled: 1-line block ×12, first 2 shown]
	v_fma_f16 v11, v27, v11, v41
	v_fma_f16 v27, v27, v35, -v42
	v_fma_f16 v12, v28, v12, v43
	v_fma_f16 v28, v28, v36, -v44
	;; [unrolled: 2-line block ×6, first 2 shown]
	v_add_f16_e32 v35, v11, v26
	v_add_f16_e32 v36, v27, v32
	v_sub_f16_e32 v11, v11, v26
	v_sub_f16_e32 v26, v27, v32
	v_add_f16_e32 v27, v12, v15
	v_add_f16_e32 v32, v28, v31
	v_sub_f16_e32 v12, v12, v15
	v_sub_f16_e32 v15, v28, v31
	;; [unrolled: 4-line block ×4, first 2 shown]
	v_sub_f16_e32 v35, v35, v28
	v_sub_f16_e32 v36, v36, v31
	;; [unrolled: 1-line block ×4, first 2 shown]
	v_add_f16_e32 v39, v13, v12
	v_add_f16_e32 v40, v14, v15
	v_sub_f16_e32 v41, v13, v12
	v_sub_f16_e32 v42, v14, v15
	v_sub_f16_e32 v12, v12, v11
	v_sub_f16_e32 v15, v15, v26
	v_add_f16_e32 v28, v28, v29
	v_add_f16_e32 v29, v31, v30
	v_sub_f16_e32 v13, v11, v13
	v_sub_f16_e32 v14, v26, v14
	v_add_f16_e32 v11, v39, v11
	v_add_f16_e32 v26, v40, v26
	v_mul_f16_e32 v30, 0x3a52, v35
	v_mul_f16_e32 v31, 0x3a52, v36
	;; [unrolled: 1-line block ×8, first 2 shown]
	v_add_f16_e32 v43, v28, v10
	v_add_f16_sdwa v10, v29, v10 dst_sel:DWORD dst_unused:UNUSED_PAD src0_sel:DWORD src1_sel:WORD_1
	v_fma_f16 v27, v27, s7, v30
	v_fma_f16 v32, v32, s7, v31
	v_fma_f16 v35, v37, s5, -v35
	v_fma_f16 v36, v38, s5, -v36
	;; [unrolled: 1-line block ×3, first 2 shown]
	v_fma_f16 v28, v28, s6, v43
	v_fma_f16 v29, v29, s6, v10
	v_fma_f16 v31, v38, s10, -v31
	v_fma_f16 v37, v13, s14, v39
	v_fma_f16 v38, v14, s14, v40
	v_fma_f16 v12, v12, s4, -v39
	v_fma_f16 v13, v13, s15, -v41
	;; [unrolled: 1-line block ×4, first 2 shown]
	v_add_f16_e32 v27, v27, v28
	v_add_f16_e32 v32, v32, v29
	;; [unrolled: 1-line block ×4, first 2 shown]
	v_fma_f16 v30, v11, s11, v37
	v_fma_f16 v12, v11, s11, v12
	;; [unrolled: 1-line block ×4, first 2 shown]
	v_add_f16_e32 v36, v36, v29
	v_add_f16_e32 v29, v31, v29
	v_fma_f16 v31, v26, s11, v38
	v_fma_f16 v15, v26, s11, v15
	v_sub_f16_e32 v26, v32, v30
	v_add_f16_e32 v37, v13, v28
	v_sub_f16_e32 v13, v28, v13
	v_add_f16_e32 v28, v30, v32
	v_mov_b32_e32 v30, 2
	v_add_f16_e32 v14, v31, v27
	v_sub_f16_e32 v38, v29, v11
	v_add_f16_e32 v11, v11, v29
	v_mul_u32_u24_e32 v29, 0x888, v33
	v_lshlrev_b32_sdwa v30, v30, v34 dst_sel:DWORD dst_unused:UNUSED_PAD src0_sel:DWORD src1_sel:BYTE_0
	v_sub_f16_e32 v39, v35, v15
	v_add_f16_e32 v40, v12, v36
	v_add3_u32 v29, 0, v29, v30
	v_pack_b32_f16 v10, v43, v10
	v_pack_b32_f16 v14, v14, v26
	v_add_f16_e32 v15, v15, v35
	v_sub_f16_e32 v12, v36, v12
	ds_write2_b32 v29, v10, v14 offset1:78
	v_pack_b32_f16 v10, v37, v38
	v_pack_b32_f16 v14, v39, v40
	v_sub_f16_e32 v27, v27, v31
	ds_write2_b32 v29, v10, v14 offset0:156 offset1:234
	v_pack_b32_f16 v10, v15, v12
	v_pack_b32_f16 v11, v13, v11
	v_add_u32_e32 v12, 0x400, v29
	ds_write2_b32 v12, v10, v11 offset0:56 offset1:134
	v_pack_b32_f16 v10, v27, v28
	ds_write_b32 v29, v10 offset:1872
	s_and_saveexec_b64 s[2:3], vcc
	s_cbranch_execz .LBB0_29
; %bb.28:
	v_lshrrev_b16_e32 v10, 1, v17
	v_mul_u32_u24_e32 v10, 0x6907, v10
	v_lshrrev_b32_e32 v10, 20, v10
	v_mul_lo_u16_e32 v10, 0x4e, v10
	v_sub_u16_e32 v26, v17, v10
	v_mul_u32_u24_e32 v10, 6, v26
	v_lshlrev_b32_e32 v27, 2, v10
	global_load_dwordx4 v[10:13], v27, s[8:9] offset:260
	global_load_dwordx2 v[14:15], v27, s[8:9] offset:276
	s_waitcnt vmcnt(1)
	v_mul_f16_sdwa v27, v23, v10 dst_sel:DWORD dst_unused:UNUSED_PAD src0_sel:DWORD src1_sel:WORD_1
	s_waitcnt vmcnt(0)
	v_mul_f16_sdwa v28, v24, v15 dst_sel:DWORD dst_unused:UNUSED_PAD src0_sel:DWORD src1_sel:WORD_1
	v_mul_f16_sdwa v29, v1, v13 dst_sel:DWORD dst_unused:UNUSED_PAD src0_sel:DWORD src1_sel:WORD_1
	;; [unrolled: 1-line block ×11, first 2 shown]
	v_fma_f16 v9, v9, v10, v27
	v_fma_f16 v25, v25, v15, v28
	;; [unrolled: 1-line block ×6, first 2 shown]
	v_fma_f16 v15, v24, v15, -v33
	v_fma_f16 v10, v23, v10, -v34
	;; [unrolled: 1-line block ×6, first 2 shown]
	v_sub_f16_e32 v14, v9, v25
	v_sub_f16_e32 v18, v4, v7
	;; [unrolled: 1-line block ×3, first 2 shown]
	v_add_f16_e32 v22, v10, v15
	v_add_f16_e32 v24, v11, v13
	;; [unrolled: 1-line block ×6, first 2 shown]
	v_sub_f16_e32 v6, v10, v15
	v_sub_f16_e32 v1, v1, v12
	v_sub_f16_e32 v7, v11, v13
	v_sub_f16_e32 v10, v14, v18
	v_sub_f16_e32 v11, v18, v21
	v_add_f16_e32 v12, v18, v21
	v_add_f16_e32 v18, v24, v22
	;; [unrolled: 1-line block ×3, first 2 shown]
	v_sub_f16_e32 v13, v22, v23
	v_sub_f16_e32 v15, v23, v24
	;; [unrolled: 1-line block ×6, first 2 shown]
	v_add_f16_e32 v1, v1, v7
	v_sub_f16_e32 v21, v21, v14
	v_sub_f16_e32 v5, v5, v9
	;; [unrolled: 1-line block ×3, first 2 shown]
	v_mul_f16_e32 v9, 0x3846, v11
	v_add_f16_e32 v11, v12, v14
	v_add_f16_e32 v14, v23, v18
	;; [unrolled: 1-line block ×3, first 2 shown]
	v_sub_f16_e32 v22, v24, v22
	v_mul_f16_e32 v12, 0x3a52, v13
	v_mul_f16_e32 v13, 0x2b26, v15
	;; [unrolled: 1-line block ×5, first 2 shown]
	v_add_f16_e32 v1, v1, v6
	v_mul_f16_e32 v6, 0xbb00, v21
	v_mul_f16_e32 v25, 0xbb00, v7
	v_add_f16_e32 v19, v19, v14
	v_add_f16_e32 v8, v8, v4
	v_fma_f16 v28, v10, s14, v9
	v_fma_f16 v15, v15, s7, v12
	;; [unrolled: 1-line block ×4, first 2 shown]
	v_fma_f16 v6, v10, s15, -v6
	v_fma_f16 v10, v22, s10, -v12
	;; [unrolled: 1-line block ×4, first 2 shown]
	v_fma_f16 v14, v14, s6, v19
	v_fma_f16 v4, v4, s6, v8
	v_fma_f16 v13, v22, s5, -v13
	v_fma_f16 v9, v21, s4, -v9
	;; [unrolled: 1-line block ×4, first 2 shown]
	v_fma_f16 v25, v11, s11, v28
	v_fma_f16 v28, v1, s11, v30
	;; [unrolled: 1-line block ×4, first 2 shown]
	v_add_f16_e32 v27, v27, v4
	v_add_f16_e32 v10, v10, v14
	;; [unrolled: 1-line block ×4, first 2 shown]
	v_fma_f16 v9, v11, s11, v9
	v_fma_f16 v1, v1, s11, v7
	v_add_f16_e32 v4, v5, v4
	v_add_f16_e32 v31, v6, v10
	v_sub_f16_e32 v32, v12, v18
	v_add_f16_e32 v5, v1, v4
	v_add_f16_e32 v7, v9, v13
	v_sub_f16_e32 v1, v4, v1
	v_sub_f16_e32 v4, v10, v6
	v_add_f16_e32 v6, v18, v12
	v_lshl_add_u32 v12, v26, 2, 0
	v_add_f16_e32 v15, v15, v14
	v_sub_f16_e32 v11, v13, v9
	v_pack_b32_f16 v4, v6, v4
	v_pack_b32_f16 v1, v1, v7
	v_add_u32_e32 v6, 0x1200, v12
	v_add_f16_e32 v29, v25, v15
	v_sub_f16_e32 v30, v27, v28
	v_sub_f16_e32 v9, v15, v25
	v_add_f16_e32 v10, v28, v27
	ds_write2_b32 v6, v4, v1 offset0:96 offset1:174
	v_pack_b32_f16 v1, v5, v11
	v_pack_b32_f16 v4, v32, v31
	v_add_u32_e32 v5, 0x1400, v12
	v_pack_b32_f16 v8, v8, v19
	v_pack_b32_f16 v9, v10, v9
	v_add_u32_e32 v10, 0x1000, v12
	ds_write2_b32 v5, v1, v4 offset0:124 offset1:202
	v_pack_b32_f16 v1, v30, v29
	ds_write2_b32 v10, v8, v9 offset0:68 offset1:146
	ds_write_b32 v12, v1 offset:6240
.LBB0_29:
	s_or_b64 exec, exec, s[2:3]
	v_lshlrev_b32_e32 v4, 1, v0
	v_mov_b32_e32 v5, 0
	v_lshlrev_b64 v[6:7], 2, v[4:5]
	v_lshlrev_b32_e32 v4, 1, v17
	v_mov_b32_e32 v1, s9
	v_add_co_u32_e32 v6, vcc, s8, v6
	v_lshlrev_b64 v[8:9], 2, v[4:5]
	v_addc_co_u32_e32 v7, vcc, v1, v7, vcc
	v_lshlrev_b32_e32 v4, 1, v16
	v_add_co_u32_e32 v8, vcc, s8, v8
	v_lshlrev_b64 v[10:11], 2, v[4:5]
	v_addc_co_u32_e32 v9, vcc, v1, v9, vcc
	s_waitcnt lgkmcnt(0)
	s_barrier
	global_load_dwordx2 v[6:7], v[6:7], off offset:2132
	v_add_co_u32_e32 v10, vcc, s8, v10
	global_load_dwordx2 v[8:9], v[8:9], off offset:2132
	v_addc_co_u32_e32 v11, vcc, v1, v11, vcc
	global_load_dwordx2 v[10:11], v[10:11], off offset:2132
	v_add_u32_e32 v1, 0x500, v20
	ds_read2_b32 v[12:13], v20 offset1:182
	v_add_u32_e32 v4, 0x1000, v20
	v_add_u32_e32 v21, 0xb00, v20
	ds_read_b32 v22, v20 offset:5824
	ds_read2_b32 v[14:15], v1 offset0:44 offset1:226
	ds_read2_b32 v[16:17], v4 offset0:68 offset1:250
	ds_read2_b32 v[18:19], v21 offset0:24 offset1:206
	s_waitcnt lgkmcnt(4)
	v_lshrrev_b32_e32 v23, 16, v12
	v_lshrrev_b32_e32 v24, 16, v13
	s_waitcnt lgkmcnt(2)
	v_lshrrev_b32_e32 v27, 16, v15
	s_waitcnt lgkmcnt(1)
	;; [unrolled: 2-line block ×3, first 2 shown]
	v_lshrrev_b32_e32 v29, 16, v18
	v_lshrrev_b32_e32 v30, 16, v17
	;; [unrolled: 1-line block ×4, first 2 shown]
	s_mov_b32 s2, 0xbaee
	s_movk_i32 s3, 0x3aee
	v_lshrrev_b32_e32 v26, 16, v14
	s_waitcnt vmcnt(0)
	s_barrier
	v_mul_f16_sdwa v32, v6, v27 dst_sel:DWORD dst_unused:UNUSED_PAD src0_sel:WORD_1 src1_sel:DWORD
	v_mul_f16_sdwa v33, v6, v15 dst_sel:DWORD dst_unused:UNUSED_PAD src0_sel:WORD_1 src1_sel:DWORD
	;; [unrolled: 1-line block ×4, first 2 shown]
	v_fma_f16 v15, v6, v15, v32
	v_fma_f16 v6, v6, v27, -v33
	v_fma_f16 v16, v7, v16, v34
	v_fma_f16 v7, v7, v28, -v35
	v_mul_f16_sdwa v27, v8, v29 dst_sel:DWORD dst_unused:UNUSED_PAD src0_sel:WORD_1 src1_sel:DWORD
	v_mul_f16_sdwa v28, v8, v18 dst_sel:DWORD dst_unused:UNUSED_PAD src0_sel:WORD_1 src1_sel:DWORD
	;; [unrolled: 1-line block ×4, first 2 shown]
	v_fma_f16 v18, v8, v18, v27
	v_fma_f16 v8, v8, v29, -v28
	v_fma_f16 v17, v9, v17, v32
	v_fma_f16 v9, v9, v30, -v33
	v_mul_f16_sdwa v29, v25, v11 dst_sel:DWORD dst_unused:UNUSED_PAD src0_sel:DWORD src1_sel:WORD_1
	v_mul_f16_sdwa v30, v22, v11 dst_sel:DWORD dst_unused:UNUSED_PAD src0_sel:DWORD src1_sel:WORD_1
	v_mul_f16_sdwa v27, v10, v31 dst_sel:DWORD dst_unused:UNUSED_PAD src0_sel:WORD_1 src1_sel:DWORD
	v_sub_f16_e32 v34, v6, v7
	v_add_f16_e32 v35, v23, v6
	v_add_f16_e32 v6, v6, v7
	v_fma_f16 v22, v22, v11, v29
	v_fma_f16 v11, v25, v11, -v30
	v_add_f16_e32 v25, v18, v17
	v_mul_f16_sdwa v28, v10, v19 dst_sel:DWORD dst_unused:UNUSED_PAD src0_sel:WORD_1 src1_sel:DWORD
	v_fma_f16 v19, v10, v19, v27
	v_fma_f16 v6, v6, -0.5, v23
	v_add_f16_e32 v23, v13, v18
	v_sub_f16_e32 v27, v8, v9
	v_fma_f16 v13, v25, -0.5, v13
	v_add_f16_e32 v25, v24, v8
	v_add_f16_e32 v8, v8, v9
	;; [unrolled: 1-line block ×4, first 2 shown]
	v_sub_f16_e32 v15, v15, v16
	v_fma_f16 v10, v10, v31, -v28
	v_add_f16_e32 v25, v25, v9
	v_fma_f16 v8, v8, -0.5, v24
	v_sub_f16_e32 v9, v18, v17
	v_add_f16_e32 v18, v19, v22
	v_fma_f16 v12, v33, -0.5, v12
	v_fma_f16 v29, v15, s3, v6
	v_fma_f16 v6, v15, s2, v6
	v_add_f16_e32 v15, v23, v17
	v_fma_f16 v17, v9, s3, v8
	v_fma_f16 v8, v9, s2, v8
	v_add_f16_e32 v9, v14, v19
	v_fma_f16 v14, v18, -0.5, v14
	v_sub_f16_e32 v18, v10, v11
	v_fma_f16 v28, v34, s2, v12
	v_fma_f16 v12, v34, s3, v12
	;; [unrolled: 1-line block ×6, first 2 shown]
	v_add_f16_e32 v18, v26, v10
	v_add_f16_e32 v10, v10, v11
	;; [unrolled: 1-line block ×6, first 2 shown]
	v_fma_f16 v10, v10, -0.5, v26
	v_sub_f16_e32 v11, v19, v22
	v_pack_b32_f16 v6, v12, v6
	v_pack_b32_f16 v8, v13, v8
	v_fma_f16 v19, v11, s3, v10
	v_fma_f16 v10, v11, s2, v10
	v_pack_b32_f16 v7, v16, v7
	v_pack_b32_f16 v11, v28, v29
	;; [unrolled: 1-line block ×3, first 2 shown]
	ds_write2_b32 v4, v6, v8 offset0:68 offset1:250
	v_pack_b32_f16 v4, v9, v18
	ds_write2_b32 v20, v7, v12 offset1:182
	v_pack_b32_f16 v7, v23, v17
	ds_write2_b32 v1, v4, v11 offset0:44 offset1:226
	v_pack_b32_f16 v1, v24, v19
	ds_write2_b32 v21, v7, v1 offset0:24 offset1:206
	v_pack_b32_f16 v1, v14, v10
	ds_write_b32 v20, v1 offset:5824
	s_waitcnt lgkmcnt(0)
	s_barrier
	s_and_saveexec_b64 s[2:3], s[0:1]
	s_cbranch_execz .LBB0_31
; %bb.30:
	v_lshl_add_u32 v8, v0, 2, 0
	v_mov_b32_e32 v1, v5
	ds_read2_b32 v[6:7], v8 offset1:182
	v_mov_b32_e32 v4, s13
	v_add_co_u32_e32 v9, vcc, s12, v2
	v_lshlrev_b64 v[1:2], 2, v[0:1]
	v_addc_co_u32_e32 v10, vcc, v4, v3, vcc
	v_add_co_u32_e32 v1, vcc, v9, v1
	v_addc_co_u32_e32 v2, vcc, v10, v2, vcc
	v_add_u32_e32 v4, 0xb6, v0
	s_waitcnt lgkmcnt(0)
	global_store_dword v[1:2], v6, off
	v_lshlrev_b64 v[1:2], 2, v[4:5]
	v_add_u32_e32 v4, 0x16c, v0
	v_add_co_u32_e32 v1, vcc, v9, v1
	v_addc_co_u32_e32 v2, vcc, v10, v2, vcc
	global_store_dword v[1:2], v7, off
	v_add_u32_e32 v1, 0x500, v8
	ds_read2_b32 v[1:2], v1 offset0:44 offset1:226
	v_lshlrev_b64 v[3:4], 2, v[4:5]
	v_add_co_u32_e32 v3, vcc, v9, v3
	v_addc_co_u32_e32 v4, vcc, v10, v4, vcc
	s_waitcnt lgkmcnt(0)
	global_store_dword v[3:4], v1, off
	v_add_u32_e32 v4, 0x222, v0
	v_lshlrev_b64 v[3:4], 2, v[4:5]
	v_add_u32_e32 v1, 0xb00, v8
	v_add_co_u32_e32 v3, vcc, v9, v3
	v_addc_co_u32_e32 v4, vcc, v10, v4, vcc
	global_store_dword v[3:4], v2, off
	v_add_u32_e32 v4, 0x2d8, v0
	ds_read2_b32 v[1:2], v1 offset0:24 offset1:206
	v_lshlrev_b64 v[3:4], 2, v[4:5]
	v_add_co_u32_e32 v3, vcc, v9, v3
	v_addc_co_u32_e32 v4, vcc, v10, v4, vcc
	s_waitcnt lgkmcnt(0)
	global_store_dword v[3:4], v1, off
	v_add_u32_e32 v4, 0x38e, v0
	;; [unrolled: 13-line block ×3, first 2 shown]
	v_lshlrev_b64 v[3:4], 2, v[4:5]
	v_add_co_u32_e32 v3, vcc, v9, v3
	v_addc_co_u32_e32 v4, vcc, v10, v4, vcc
	global_store_dword v[3:4], v2, off
	v_add_u32_e32 v4, 0x5b0, v0
	ds_read_b32 v2, v8 offset:5824
	v_lshlrev_b64 v[0:1], 2, v[4:5]
	v_add_co_u32_e32 v0, vcc, v9, v0
	v_addc_co_u32_e32 v1, vcc, v10, v1, vcc
	s_waitcnt lgkmcnt(0)
	global_store_dword v[0:1], v2, off
.LBB0_31:
	s_endpgm
	.section	.rodata,"a",@progbits
	.p2align	6, 0x0
	.amdhsa_kernel fft_rtc_back_len1638_factors_13_2_3_7_3_wgs_182_tpt_182_halfLds_half_ip_CI_unitstride_sbrr_C2R_dirReg
		.amdhsa_group_segment_fixed_size 0
		.amdhsa_private_segment_fixed_size 0
		.amdhsa_kernarg_size 88
		.amdhsa_user_sgpr_count 6
		.amdhsa_user_sgpr_private_segment_buffer 1
		.amdhsa_user_sgpr_dispatch_ptr 0
		.amdhsa_user_sgpr_queue_ptr 0
		.amdhsa_user_sgpr_kernarg_segment_ptr 1
		.amdhsa_user_sgpr_dispatch_id 0
		.amdhsa_user_sgpr_flat_scratch_init 0
		.amdhsa_user_sgpr_private_segment_size 0
		.amdhsa_uses_dynamic_stack 0
		.amdhsa_system_sgpr_private_segment_wavefront_offset 0
		.amdhsa_system_sgpr_workgroup_id_x 1
		.amdhsa_system_sgpr_workgroup_id_y 0
		.amdhsa_system_sgpr_workgroup_id_z 0
		.amdhsa_system_sgpr_workgroup_info 0
		.amdhsa_system_vgpr_workitem_id 0
		.amdhsa_next_free_vgpr 125
		.amdhsa_next_free_sgpr 22
		.amdhsa_reserve_vcc 1
		.amdhsa_reserve_flat_scratch 0
		.amdhsa_float_round_mode_32 0
		.amdhsa_float_round_mode_16_64 0
		.amdhsa_float_denorm_mode_32 3
		.amdhsa_float_denorm_mode_16_64 3
		.amdhsa_dx10_clamp 1
		.amdhsa_ieee_mode 1
		.amdhsa_fp16_overflow 0
		.amdhsa_exception_fp_ieee_invalid_op 0
		.amdhsa_exception_fp_denorm_src 0
		.amdhsa_exception_fp_ieee_div_zero 0
		.amdhsa_exception_fp_ieee_overflow 0
		.amdhsa_exception_fp_ieee_underflow 0
		.amdhsa_exception_fp_ieee_inexact 0
		.amdhsa_exception_int_div_zero 0
	.end_amdhsa_kernel
	.text
.Lfunc_end0:
	.size	fft_rtc_back_len1638_factors_13_2_3_7_3_wgs_182_tpt_182_halfLds_half_ip_CI_unitstride_sbrr_C2R_dirReg, .Lfunc_end0-fft_rtc_back_len1638_factors_13_2_3_7_3_wgs_182_tpt_182_halfLds_half_ip_CI_unitstride_sbrr_C2R_dirReg
                                        ; -- End function
	.section	.AMDGPU.csdata,"",@progbits
; Kernel info:
; codeLenInByte = 10068
; NumSgprs: 26
; NumVgprs: 125
; ScratchSize: 0
; MemoryBound: 0
; FloatMode: 240
; IeeeMode: 1
; LDSByteSize: 0 bytes/workgroup (compile time only)
; SGPRBlocks: 3
; VGPRBlocks: 31
; NumSGPRsForWavesPerEU: 26
; NumVGPRsForWavesPerEU: 125
; Occupancy: 2
; WaveLimiterHint : 1
; COMPUTE_PGM_RSRC2:SCRATCH_EN: 0
; COMPUTE_PGM_RSRC2:USER_SGPR: 6
; COMPUTE_PGM_RSRC2:TRAP_HANDLER: 0
; COMPUTE_PGM_RSRC2:TGID_X_EN: 1
; COMPUTE_PGM_RSRC2:TGID_Y_EN: 0
; COMPUTE_PGM_RSRC2:TGID_Z_EN: 0
; COMPUTE_PGM_RSRC2:TIDIG_COMP_CNT: 0
	.type	__hip_cuid_b0bb807db900a1ac,@object ; @__hip_cuid_b0bb807db900a1ac
	.section	.bss,"aw",@nobits
	.globl	__hip_cuid_b0bb807db900a1ac
__hip_cuid_b0bb807db900a1ac:
	.byte	0                               ; 0x0
	.size	__hip_cuid_b0bb807db900a1ac, 1

	.ident	"AMD clang version 19.0.0git (https://github.com/RadeonOpenCompute/llvm-project roc-6.4.0 25133 c7fe45cf4b819c5991fe208aaa96edf142730f1d)"
	.section	".note.GNU-stack","",@progbits
	.addrsig
	.addrsig_sym __hip_cuid_b0bb807db900a1ac
	.amdgpu_metadata
---
amdhsa.kernels:
  - .args:
      - .actual_access:  read_only
        .address_space:  global
        .offset:         0
        .size:           8
        .value_kind:     global_buffer
      - .offset:         8
        .size:           8
        .value_kind:     by_value
      - .actual_access:  read_only
        .address_space:  global
        .offset:         16
        .size:           8
        .value_kind:     global_buffer
      - .actual_access:  read_only
        .address_space:  global
        .offset:         24
        .size:           8
        .value_kind:     global_buffer
      - .offset:         32
        .size:           8
        .value_kind:     by_value
      - .actual_access:  read_only
        .address_space:  global
        .offset:         40
        .size:           8
        .value_kind:     global_buffer
      - .actual_access:  read_only
        .address_space:  global
        .offset:         48
        .size:           8
        .value_kind:     global_buffer
      - .offset:         56
        .size:           4
        .value_kind:     by_value
      - .actual_access:  read_only
        .address_space:  global
        .offset:         64
        .size:           8
        .value_kind:     global_buffer
      - .actual_access:  read_only
        .address_space:  global
        .offset:         72
        .size:           8
        .value_kind:     global_buffer
      - .address_space:  global
        .offset:         80
        .size:           8
        .value_kind:     global_buffer
    .group_segment_fixed_size: 0
    .kernarg_segment_align: 8
    .kernarg_segment_size: 88
    .language:       OpenCL C
    .language_version:
      - 2
      - 0
    .max_flat_workgroup_size: 182
    .name:           fft_rtc_back_len1638_factors_13_2_3_7_3_wgs_182_tpt_182_halfLds_half_ip_CI_unitstride_sbrr_C2R_dirReg
    .private_segment_fixed_size: 0
    .sgpr_count:     26
    .sgpr_spill_count: 0
    .symbol:         fft_rtc_back_len1638_factors_13_2_3_7_3_wgs_182_tpt_182_halfLds_half_ip_CI_unitstride_sbrr_C2R_dirReg.kd
    .uniform_work_group_size: 1
    .uses_dynamic_stack: false
    .vgpr_count:     125
    .vgpr_spill_count: 0
    .wavefront_size: 64
amdhsa.target:   amdgcn-amd-amdhsa--gfx906
amdhsa.version:
  - 1
  - 2
...

	.end_amdgpu_metadata
